;; amdgpu-corpus repo=ROCm/rccl kind=compiled arch=gfx1100 opt=O3
	.text
	.amdgcn_target "amdgcn-amd-amdhsa--gfx1100"
	.amdhsa_code_object_version 6
	.p2align	2                               ; -- Begin function __ockl_fprintf_append_string_n
	.type	__ockl_fprintf_append_string_n,@function
__ockl_fprintf_append_string_n:         ; @__ockl_fprintf_append_string_n
; %bb.0:
	s_waitcnt vmcnt(0) expcnt(0) lgkmcnt(0)
	v_dual_mov_b32 v8, v3 :: v_dual_mov_b32 v7, v2
	v_or_b32_e32 v2, 2, v0
	v_cmp_eq_u32_e32 vcc_lo, 0, v6
	v_mbcnt_lo_u32_b32 v33, -1, 0
	s_mov_b32 s11, 0
	s_mov_b32 s0, exec_lo
	v_cndmask_b32_e32 v0, v2, v0, vcc_lo
	v_cmpx_ne_u64_e32 0, v[7:8]
	s_xor_b32 s10, exec_lo, s0
	s_cbranch_execz .LBB0_86
; %bb.1:
	s_load_b64 s[2:3], s[8:9], 0x50
	v_dual_mov_b32 v11, 2 :: v_dual_and_b32 v6, 2, v0
	v_mov_b32_e32 v10, 0
	v_and_b32_e32 v0, -3, v0
	v_mov_b32_e32 v12, 1
	s_mov_b32 s12, 0
	s_branch .LBB0_3
.LBB0_2:                                ;   in Loop: Header=BB0_3 Depth=1
	s_or_b32 exec_lo, exec_lo, s1
	v_sub_co_u32 v4, vcc_lo, v4, v29
	v_sub_co_ci_u32_e32 v5, vcc_lo, v5, v30, vcc_lo
	v_add_co_u32 v7, s0, v7, v29
	s_delay_alu instid0(VALU_DEP_1) | instskip(NEXT) | instid1(VALU_DEP_3)
	v_add_co_ci_u32_e64 v8, s0, v8, v30, s0
	v_cmp_eq_u64_e32 vcc_lo, 0, v[4:5]
	s_or_b32 s12, vcc_lo, s12
	s_delay_alu instid0(SALU_CYCLE_1)
	s_and_not1_b32 exec_lo, exec_lo, s12
	s_cbranch_execz .LBB0_85
.LBB0_3:                                ; =>This Loop Header: Depth=1
                                        ;     Child Loop BB0_6 Depth 2
                                        ;     Child Loop BB0_14 Depth 2
	;; [unrolled: 1-line block ×11, first 2 shown]
	v_cmp_gt_u64_e32 vcc_lo, 56, v[4:5]
	s_mov_b32 s1, exec_lo
                                        ; implicit-def: $vgpr2_vgpr3
                                        ; implicit-def: $sgpr4
	v_dual_cndmask_b32 v30, 0, v5 :: v_dual_cndmask_b32 v29, 56, v4
	v_cmpx_gt_u64_e32 8, v[4:5]
	s_xor_b32 s1, exec_lo, s1
	s_cbranch_execz .LBB0_9
; %bb.4:                                ;   in Loop: Header=BB0_3 Depth=1
	s_waitcnt vmcnt(0)
	v_mov_b32_e32 v2, 0
	v_mov_b32_e32 v3, 0
	s_mov_b64 s[4:5], 0
	s_mov_b32 s6, exec_lo
	v_cmpx_ne_u64_e32 0, v[4:5]
	s_cbranch_execz .LBB0_8
; %bb.5:                                ;   in Loop: Header=BB0_3 Depth=1
	v_lshlrev_b64 v[13:14], 3, v[29:30]
	v_dual_mov_b32 v2, 0 :: v_dual_mov_b32 v15, v8
	v_dual_mov_b32 v3, 0 :: v_dual_mov_b32 v14, v7
	s_mov_b32 s7, 0
	.p2align	6
.LBB0_6:                                ;   Parent Loop BB0_3 Depth=1
                                        ; =>  This Inner Loop Header: Depth=2
	flat_load_u8 v9, v[14:15]
	v_mov_b32_e32 v17, s11
	v_add_co_u32 v14, vcc_lo, v14, 1
	v_add_co_ci_u32_e32 v15, vcc_lo, 0, v15, vcc_lo
	s_waitcnt vmcnt(0) lgkmcnt(0)
	v_and_b32_e32 v16, 0xffff, v9
	s_delay_alu instid0(VALU_DEP_1) | instskip(SKIP_3) | instid1(VALU_DEP_2)
	v_lshlrev_b64 v[16:17], s4, v[16:17]
	s_add_u32 s4, s4, 8
	s_addc_u32 s5, s5, 0
	v_cmp_eq_u32_e64 s0, s4, v13
	v_or_b32_e32 v3, v17, v3
	s_delay_alu instid0(VALU_DEP_3) | instskip(NEXT) | instid1(VALU_DEP_3)
	v_or_b32_e32 v2, v16, v2
	s_or_b32 s7, s0, s7
	s_delay_alu instid0(SALU_CYCLE_1)
	s_and_not1_b32 exec_lo, exec_lo, s7
	s_cbranch_execnz .LBB0_6
; %bb.7:                                ;   in Loop: Header=BB0_3 Depth=1
	s_or_b32 exec_lo, exec_lo, s7
.LBB0_8:                                ;   in Loop: Header=BB0_3 Depth=1
	s_delay_alu instid0(SALU_CYCLE_1)
	s_or_b32 exec_lo, exec_lo, s6
	s_mov_b32 s4, 0
.LBB0_9:                                ;   in Loop: Header=BB0_3 Depth=1
	s_or_saveexec_b32 s0, s1
	v_dual_mov_b32 v9, s4 :: v_dual_mov_b32 v26, v8
	v_mov_b32_e32 v25, v7
	s_xor_b32 exec_lo, exec_lo, s0
	s_cbranch_execz .LBB0_11
; %bb.10:                               ;   in Loop: Header=BB0_3 Depth=1
	s_waitcnt vmcnt(0)
	flat_load_b64 v[2:3], v[7:8]
	v_add_co_u32 v25, vcc_lo, v7, 8
	v_add_co_ci_u32_e32 v26, vcc_lo, 0, v8, vcc_lo
	s_waitcnt vmcnt(0) lgkmcnt(0)
	v_and_b32_e32 v9, 0xff, v3
	v_and_b32_e32 v13, 0xff00, v3
	;; [unrolled: 1-line block ×4, first 2 shown]
	v_or3_b32 v2, v2, 0, 0
	s_delay_alu instid0(VALU_DEP_4) | instskip(SKIP_1) | instid1(VALU_DEP_2)
	v_or_b32_e32 v13, v9, v13
	v_add_nc_u32_e32 v9, -8, v29
	v_or3_b32 v3, v13, v14, v3
.LBB0_11:                               ;   in Loop: Header=BB0_3 Depth=1
	s_or_b32 exec_lo, exec_lo, s0
                                        ; implicit-def: $vgpr13_vgpr14
                                        ; implicit-def: $sgpr1
	s_delay_alu instid0(SALU_CYCLE_1) | instskip(NEXT) | instid1(VALU_DEP_2)
	s_mov_b32 s0, exec_lo
	v_cmpx_gt_u32_e32 8, v9
	s_xor_b32 s6, exec_lo, s0
	s_cbranch_execz .LBB0_17
; %bb.12:                               ;   in Loop: Header=BB0_3 Depth=1
	v_mov_b32_e32 v13, 0
	v_mov_b32_e32 v14, 0
	s_mov_b32 s7, exec_lo
	v_cmpx_ne_u32_e32 0, v9
	s_cbranch_execz .LBB0_16
; %bb.13:                               ;   in Loop: Header=BB0_3 Depth=1
	v_mov_b32_e32 v13, 0
	v_mov_b32_e32 v14, 0
	s_mov_b64 s[0:1], 0
	s_mov_b32 s13, 0
	s_mov_b64 s[4:5], 0
	.p2align	6
.LBB0_14:                               ;   Parent Loop BB0_3 Depth=1
                                        ; =>  This Inner Loop Header: Depth=2
	s_delay_alu instid0(SALU_CYCLE_1)
	v_add_co_u32 v15, vcc_lo, v25, s4
	v_add_co_ci_u32_e32 v16, vcc_lo, s5, v26, vcc_lo
	s_add_u32 s4, s4, 1
	s_addc_u32 s5, s5, 0
	v_cmp_eq_u32_e32 vcc_lo, s4, v9
	flat_load_u8 v15, v[15:16]
	s_waitcnt vmcnt(0) lgkmcnt(0)
	v_dual_mov_b32 v16, s11 :: v_dual_and_b32 v15, 0xffff, v15
	s_delay_alu instid0(VALU_DEP_1) | instskip(SKIP_3) | instid1(VALU_DEP_1)
	v_lshlrev_b64 v[15:16], s0, v[15:16]
	s_add_u32 s0, s0, 8
	s_addc_u32 s1, s1, 0
	s_or_b32 s13, vcc_lo, s13
	v_or_b32_e32 v14, v16, v14
	s_delay_alu instid0(VALU_DEP_2)
	v_or_b32_e32 v13, v15, v13
	s_and_not1_b32 exec_lo, exec_lo, s13
	s_cbranch_execnz .LBB0_14
; %bb.15:                               ;   in Loop: Header=BB0_3 Depth=1
	s_or_b32 exec_lo, exec_lo, s13
.LBB0_16:                               ;   in Loop: Header=BB0_3 Depth=1
	s_delay_alu instid0(SALU_CYCLE_1)
	s_or_b32 exec_lo, exec_lo, s7
	s_mov_b32 s1, 0
                                        ; implicit-def: $vgpr9
.LBB0_17:                               ;   in Loop: Header=BB0_3 Depth=1
	s_or_saveexec_b32 s0, s6
	v_mov_b32_e32 v17, s1
	s_xor_b32 exec_lo, exec_lo, s0
	s_cbranch_execz .LBB0_19
; %bb.18:                               ;   in Loop: Header=BB0_3 Depth=1
	flat_load_b64 v[13:14], v[25:26]
	v_add_co_u32 v25, vcc_lo, v25, 8
	v_add_nc_u32_e32 v17, -8, v9
	v_add_co_ci_u32_e32 v26, vcc_lo, 0, v26, vcc_lo
	s_waitcnt vmcnt(0) lgkmcnt(0)
	v_and_b32_e32 v15, 0xff, v14
	v_and_b32_e32 v16, 0xff00, v14
	;; [unrolled: 1-line block ×4, first 2 shown]
	v_or3_b32 v13, v13, 0, 0
	s_delay_alu instid0(VALU_DEP_4) | instskip(NEXT) | instid1(VALU_DEP_1)
	v_or_b32_e32 v15, v15, v16
	v_or3_b32 v14, v15, v18, v14
.LBB0_19:                               ;   in Loop: Header=BB0_3 Depth=1
	s_or_b32 exec_lo, exec_lo, s0
                                        ; implicit-def: $sgpr1
	s_delay_alu instid0(SALU_CYCLE_1)
	s_mov_b32 s0, exec_lo
	v_cmpx_gt_u32_e32 8, v17
	s_xor_b32 s6, exec_lo, s0
	s_cbranch_execz .LBB0_25
; %bb.20:                               ;   in Loop: Header=BB0_3 Depth=1
	v_mov_b32_e32 v15, 0
	v_mov_b32_e32 v16, 0
	s_mov_b32 s7, exec_lo
	v_cmpx_ne_u32_e32 0, v17
	s_cbranch_execz .LBB0_24
; %bb.21:                               ;   in Loop: Header=BB0_3 Depth=1
	v_mov_b32_e32 v15, 0
	v_mov_b32_e32 v16, 0
	s_mov_b64 s[0:1], 0
	s_mov_b32 s13, 0
	s_mov_b64 s[4:5], 0
	.p2align	6
.LBB0_22:                               ;   Parent Loop BB0_3 Depth=1
                                        ; =>  This Inner Loop Header: Depth=2
	s_delay_alu instid0(SALU_CYCLE_1)
	v_add_co_u32 v18, vcc_lo, v25, s4
	v_add_co_ci_u32_e32 v19, vcc_lo, s5, v26, vcc_lo
	s_add_u32 s4, s4, 1
	s_addc_u32 s5, s5, 0
	v_cmp_eq_u32_e32 vcc_lo, s4, v17
	flat_load_u8 v9, v[18:19]
	s_waitcnt vmcnt(0) lgkmcnt(0)
	v_dual_mov_b32 v19, s11 :: v_dual_and_b32 v18, 0xffff, v9
	s_delay_alu instid0(VALU_DEP_1) | instskip(SKIP_3) | instid1(VALU_DEP_1)
	v_lshlrev_b64 v[18:19], s0, v[18:19]
	s_add_u32 s0, s0, 8
	s_addc_u32 s1, s1, 0
	s_or_b32 s13, vcc_lo, s13
	v_or_b32_e32 v16, v19, v16
	s_delay_alu instid0(VALU_DEP_2)
	v_or_b32_e32 v15, v18, v15
	s_and_not1_b32 exec_lo, exec_lo, s13
	s_cbranch_execnz .LBB0_22
; %bb.23:                               ;   in Loop: Header=BB0_3 Depth=1
	s_or_b32 exec_lo, exec_lo, s13
.LBB0_24:                               ;   in Loop: Header=BB0_3 Depth=1
	s_delay_alu instid0(SALU_CYCLE_1)
	s_or_b32 exec_lo, exec_lo, s7
	s_mov_b32 s1, 0
                                        ; implicit-def: $vgpr17
.LBB0_25:                               ;   in Loop: Header=BB0_3 Depth=1
	s_or_saveexec_b32 s0, s6
	v_mov_b32_e32 v9, s1
	s_xor_b32 exec_lo, exec_lo, s0
	s_cbranch_execz .LBB0_27
; %bb.26:                               ;   in Loop: Header=BB0_3 Depth=1
	flat_load_b64 v[15:16], v[25:26]
	v_add_co_u32 v25, vcc_lo, v25, 8
	v_add_co_ci_u32_e32 v26, vcc_lo, 0, v26, vcc_lo
	s_waitcnt vmcnt(0) lgkmcnt(0)
	v_and_b32_e32 v9, 0xff, v16
	v_and_b32_e32 v18, 0xff00, v16
	;; [unrolled: 1-line block ×4, first 2 shown]
	v_or3_b32 v15, v15, 0, 0
	s_delay_alu instid0(VALU_DEP_4) | instskip(SKIP_1) | instid1(VALU_DEP_2)
	v_or_b32_e32 v18, v9, v18
	v_add_nc_u32_e32 v9, -8, v17
	v_or3_b32 v16, v18, v19, v16
.LBB0_27:                               ;   in Loop: Header=BB0_3 Depth=1
	s_or_b32 exec_lo, exec_lo, s0
                                        ; implicit-def: $vgpr17_vgpr18
                                        ; implicit-def: $sgpr1
	s_delay_alu instid0(SALU_CYCLE_1) | instskip(NEXT) | instid1(VALU_DEP_1)
	s_mov_b32 s0, exec_lo
	v_cmpx_gt_u32_e32 8, v9
	s_xor_b32 s6, exec_lo, s0
	s_cbranch_execz .LBB0_33
; %bb.28:                               ;   in Loop: Header=BB0_3 Depth=1
	v_mov_b32_e32 v17, 0
	v_mov_b32_e32 v18, 0
	s_mov_b32 s7, exec_lo
	v_cmpx_ne_u32_e32 0, v9
	s_cbranch_execz .LBB0_32
; %bb.29:                               ;   in Loop: Header=BB0_3 Depth=1
	v_mov_b32_e32 v17, 0
	v_mov_b32_e32 v18, 0
	s_mov_b64 s[0:1], 0
	s_mov_b32 s13, 0
	s_mov_b64 s[4:5], 0
	.p2align	6
.LBB0_30:                               ;   Parent Loop BB0_3 Depth=1
                                        ; =>  This Inner Loop Header: Depth=2
	s_delay_alu instid0(SALU_CYCLE_1)
	v_add_co_u32 v19, vcc_lo, v25, s4
	v_add_co_ci_u32_e32 v20, vcc_lo, s5, v26, vcc_lo
	s_add_u32 s4, s4, 1
	s_addc_u32 s5, s5, 0
	v_cmp_eq_u32_e32 vcc_lo, s4, v9
	flat_load_u8 v19, v[19:20]
	s_waitcnt vmcnt(0) lgkmcnt(0)
	v_dual_mov_b32 v20, s11 :: v_dual_and_b32 v19, 0xffff, v19
	s_delay_alu instid0(VALU_DEP_1) | instskip(SKIP_3) | instid1(VALU_DEP_1)
	v_lshlrev_b64 v[19:20], s0, v[19:20]
	s_add_u32 s0, s0, 8
	s_addc_u32 s1, s1, 0
	s_or_b32 s13, vcc_lo, s13
	v_or_b32_e32 v18, v20, v18
	s_delay_alu instid0(VALU_DEP_2)
	v_or_b32_e32 v17, v19, v17
	s_and_not1_b32 exec_lo, exec_lo, s13
	s_cbranch_execnz .LBB0_30
; %bb.31:                               ;   in Loop: Header=BB0_3 Depth=1
	s_or_b32 exec_lo, exec_lo, s13
.LBB0_32:                               ;   in Loop: Header=BB0_3 Depth=1
	s_delay_alu instid0(SALU_CYCLE_1)
	s_or_b32 exec_lo, exec_lo, s7
	s_mov_b32 s1, 0
                                        ; implicit-def: $vgpr9
.LBB0_33:                               ;   in Loop: Header=BB0_3 Depth=1
	s_or_saveexec_b32 s0, s6
	v_mov_b32_e32 v21, s1
	s_xor_b32 exec_lo, exec_lo, s0
	s_cbranch_execz .LBB0_35
; %bb.34:                               ;   in Loop: Header=BB0_3 Depth=1
	flat_load_b64 v[17:18], v[25:26]
	v_add_co_u32 v25, vcc_lo, v25, 8
	v_add_nc_u32_e32 v21, -8, v9
	v_add_co_ci_u32_e32 v26, vcc_lo, 0, v26, vcc_lo
	s_waitcnt vmcnt(0) lgkmcnt(0)
	v_and_b32_e32 v19, 0xff, v18
	v_and_b32_e32 v20, 0xff00, v18
	;; [unrolled: 1-line block ×4, first 2 shown]
	v_or3_b32 v17, v17, 0, 0
	s_delay_alu instid0(VALU_DEP_4) | instskip(NEXT) | instid1(VALU_DEP_1)
	v_or_b32_e32 v19, v19, v20
	v_or3_b32 v18, v19, v22, v18
.LBB0_35:                               ;   in Loop: Header=BB0_3 Depth=1
	s_or_b32 exec_lo, exec_lo, s0
                                        ; implicit-def: $sgpr1
	s_delay_alu instid0(SALU_CYCLE_1)
	s_mov_b32 s0, exec_lo
	v_cmpx_gt_u32_e32 8, v21
	s_xor_b32 s6, exec_lo, s0
	s_cbranch_execz .LBB0_41
; %bb.36:                               ;   in Loop: Header=BB0_3 Depth=1
	v_mov_b32_e32 v19, 0
	v_mov_b32_e32 v20, 0
	s_mov_b32 s7, exec_lo
	v_cmpx_ne_u32_e32 0, v21
	s_cbranch_execz .LBB0_40
; %bb.37:                               ;   in Loop: Header=BB0_3 Depth=1
	v_mov_b32_e32 v19, 0
	v_mov_b32_e32 v20, 0
	s_mov_b64 s[0:1], 0
	s_mov_b32 s13, 0
	s_mov_b64 s[4:5], 0
	.p2align	6
.LBB0_38:                               ;   Parent Loop BB0_3 Depth=1
                                        ; =>  This Inner Loop Header: Depth=2
	s_delay_alu instid0(SALU_CYCLE_1)
	v_add_co_u32 v22, vcc_lo, v25, s4
	v_add_co_ci_u32_e32 v23, vcc_lo, s5, v26, vcc_lo
	s_add_u32 s4, s4, 1
	s_addc_u32 s5, s5, 0
	v_cmp_eq_u32_e32 vcc_lo, s4, v21
	flat_load_u8 v9, v[22:23]
	s_waitcnt vmcnt(0) lgkmcnt(0)
	v_dual_mov_b32 v23, s11 :: v_dual_and_b32 v22, 0xffff, v9
	s_delay_alu instid0(VALU_DEP_1) | instskip(SKIP_3) | instid1(VALU_DEP_1)
	v_lshlrev_b64 v[22:23], s0, v[22:23]
	s_add_u32 s0, s0, 8
	s_addc_u32 s1, s1, 0
	s_or_b32 s13, vcc_lo, s13
	v_or_b32_e32 v20, v23, v20
	s_delay_alu instid0(VALU_DEP_2)
	v_or_b32_e32 v19, v22, v19
	s_and_not1_b32 exec_lo, exec_lo, s13
	s_cbranch_execnz .LBB0_38
; %bb.39:                               ;   in Loop: Header=BB0_3 Depth=1
	s_or_b32 exec_lo, exec_lo, s13
.LBB0_40:                               ;   in Loop: Header=BB0_3 Depth=1
	s_delay_alu instid0(SALU_CYCLE_1)
	s_or_b32 exec_lo, exec_lo, s7
	s_mov_b32 s1, 0
                                        ; implicit-def: $vgpr21
.LBB0_41:                               ;   in Loop: Header=BB0_3 Depth=1
	s_or_saveexec_b32 s0, s6
	v_mov_b32_e32 v9, s1
	s_xor_b32 exec_lo, exec_lo, s0
	s_cbranch_execz .LBB0_43
; %bb.42:                               ;   in Loop: Header=BB0_3 Depth=1
	flat_load_b64 v[19:20], v[25:26]
	v_add_co_u32 v25, vcc_lo, v25, 8
	v_add_co_ci_u32_e32 v26, vcc_lo, 0, v26, vcc_lo
	s_waitcnt vmcnt(0) lgkmcnt(0)
	v_and_b32_e32 v9, 0xff, v20
	v_and_b32_e32 v22, 0xff00, v20
	;; [unrolled: 1-line block ×4, first 2 shown]
	v_or3_b32 v19, v19, 0, 0
	s_delay_alu instid0(VALU_DEP_4) | instskip(SKIP_1) | instid1(VALU_DEP_2)
	v_or_b32_e32 v22, v9, v22
	v_add_nc_u32_e32 v9, -8, v21
	v_or3_b32 v20, v22, v23, v20
.LBB0_43:                               ;   in Loop: Header=BB0_3 Depth=1
	s_or_b32 exec_lo, exec_lo, s0
                                        ; implicit-def: $vgpr21_vgpr22
                                        ; implicit-def: $sgpr1
	s_delay_alu instid0(SALU_CYCLE_1) | instskip(NEXT) | instid1(VALU_DEP_1)
	s_mov_b32 s0, exec_lo
	v_cmpx_gt_u32_e32 8, v9
	s_xor_b32 s6, exec_lo, s0
	s_cbranch_execz .LBB0_49
; %bb.44:                               ;   in Loop: Header=BB0_3 Depth=1
	v_mov_b32_e32 v21, 0
	v_mov_b32_e32 v22, 0
	s_mov_b32 s7, exec_lo
	v_cmpx_ne_u32_e32 0, v9
	s_cbranch_execz .LBB0_48
; %bb.45:                               ;   in Loop: Header=BB0_3 Depth=1
	v_mov_b32_e32 v21, 0
	v_mov_b32_e32 v22, 0
	s_mov_b64 s[0:1], 0
	s_mov_b32 s13, 0
	s_mov_b64 s[4:5], 0
	.p2align	6
.LBB0_46:                               ;   Parent Loop BB0_3 Depth=1
                                        ; =>  This Inner Loop Header: Depth=2
	s_delay_alu instid0(SALU_CYCLE_1)
	v_add_co_u32 v23, vcc_lo, v25, s4
	v_add_co_ci_u32_e32 v24, vcc_lo, s5, v26, vcc_lo
	s_add_u32 s4, s4, 1
	s_addc_u32 s5, s5, 0
	v_cmp_eq_u32_e32 vcc_lo, s4, v9
	flat_load_u8 v23, v[23:24]
	s_waitcnt vmcnt(0) lgkmcnt(0)
	v_dual_mov_b32 v24, s11 :: v_dual_and_b32 v23, 0xffff, v23
	s_delay_alu instid0(VALU_DEP_1) | instskip(SKIP_3) | instid1(VALU_DEP_1)
	v_lshlrev_b64 v[23:24], s0, v[23:24]
	s_add_u32 s0, s0, 8
	s_addc_u32 s1, s1, 0
	s_or_b32 s13, vcc_lo, s13
	v_or_b32_e32 v22, v24, v22
	s_delay_alu instid0(VALU_DEP_2)
	v_or_b32_e32 v21, v23, v21
	s_and_not1_b32 exec_lo, exec_lo, s13
	s_cbranch_execnz .LBB0_46
; %bb.47:                               ;   in Loop: Header=BB0_3 Depth=1
	s_or_b32 exec_lo, exec_lo, s13
.LBB0_48:                               ;   in Loop: Header=BB0_3 Depth=1
	s_delay_alu instid0(SALU_CYCLE_1)
	s_or_b32 exec_lo, exec_lo, s7
	s_mov_b32 s1, 0
                                        ; implicit-def: $vgpr9
.LBB0_49:                               ;   in Loop: Header=BB0_3 Depth=1
	s_or_saveexec_b32 s0, s6
	v_mov_b32_e32 v27, s1
	s_xor_b32 exec_lo, exec_lo, s0
	s_cbranch_execz .LBB0_51
; %bb.50:                               ;   in Loop: Header=BB0_3 Depth=1
	flat_load_b64 v[21:22], v[25:26]
	v_add_co_u32 v25, vcc_lo, v25, 8
	v_add_nc_u32_e32 v27, -8, v9
	v_add_co_ci_u32_e32 v26, vcc_lo, 0, v26, vcc_lo
	s_waitcnt vmcnt(0) lgkmcnt(0)
	v_and_b32_e32 v23, 0xff, v22
	v_and_b32_e32 v24, 0xff00, v22
	;; [unrolled: 1-line block ×4, first 2 shown]
	v_or3_b32 v21, v21, 0, 0
	s_delay_alu instid0(VALU_DEP_4) | instskip(NEXT) | instid1(VALU_DEP_1)
	v_or_b32_e32 v23, v23, v24
	v_or3_b32 v22, v23, v28, v22
.LBB0_51:                               ;   in Loop: Header=BB0_3 Depth=1
	s_or_b32 exec_lo, exec_lo, s0
	s_delay_alu instid0(SALU_CYCLE_1)
	s_mov_b32 s0, exec_lo
	v_cmpx_gt_u32_e32 8, v27
	s_xor_b32 s4, exec_lo, s0
	s_cbranch_execz .LBB0_57
; %bb.52:                               ;   in Loop: Header=BB0_3 Depth=1
	v_mov_b32_e32 v23, 0
	v_mov_b32_e32 v24, 0
	s_mov_b32 s5, exec_lo
	v_cmpx_ne_u32_e32 0, v27
	s_cbranch_execz .LBB0_56
; %bb.53:                               ;   in Loop: Header=BB0_3 Depth=1
	v_mov_b32_e32 v23, 0
	v_mov_b32_e32 v24, 0
	s_mov_b64 s[0:1], 0
	s_mov_b32 s6, 0
	.p2align	6
.LBB0_54:                               ;   Parent Loop BB0_3 Depth=1
                                        ; =>  This Inner Loop Header: Depth=2
	flat_load_u8 v9, v[25:26]
	v_dual_mov_b32 v32, s11 :: v_dual_add_nc_u32 v27, -1, v27
	v_add_co_u32 v25, vcc_lo, v25, 1
	v_add_co_ci_u32_e32 v26, vcc_lo, 0, v26, vcc_lo
	s_delay_alu instid0(VALU_DEP_3) | instskip(SKIP_2) | instid1(VALU_DEP_1)
	v_cmp_eq_u32_e32 vcc_lo, 0, v27
	s_waitcnt vmcnt(0) lgkmcnt(0)
	v_and_b32_e32 v31, 0xffff, v9
	v_lshlrev_b64 v[31:32], s0, v[31:32]
	s_add_u32 s0, s0, 8
	s_addc_u32 s1, s1, 0
	s_or_b32 s6, vcc_lo, s6
	s_delay_alu instid0(VALU_DEP_1) | instskip(NEXT) | instid1(VALU_DEP_2)
	v_or_b32_e32 v24, v32, v24
	v_or_b32_e32 v23, v31, v23
	s_and_not1_b32 exec_lo, exec_lo, s6
	s_cbranch_execnz .LBB0_54
; %bb.55:                               ;   in Loop: Header=BB0_3 Depth=1
	s_or_b32 exec_lo, exec_lo, s6
.LBB0_56:                               ;   in Loop: Header=BB0_3 Depth=1
	s_delay_alu instid0(SALU_CYCLE_1)
	s_or_b32 exec_lo, exec_lo, s5
                                        ; implicit-def: $vgpr25_vgpr26
.LBB0_57:                               ;   in Loop: Header=BB0_3 Depth=1
	s_and_not1_saveexec_b32 s0, s4
	s_cbranch_execz .LBB0_59
; %bb.58:                               ;   in Loop: Header=BB0_3 Depth=1
	flat_load_b64 v[23:24], v[25:26]
	s_waitcnt vmcnt(0) lgkmcnt(0)
	v_and_b32_e32 v9, 0xff, v24
	v_and_b32_e32 v25, 0xff00, v24
	;; [unrolled: 1-line block ×4, first 2 shown]
	v_or3_b32 v23, v23, 0, 0
	s_delay_alu instid0(VALU_DEP_4) | instskip(NEXT) | instid1(VALU_DEP_1)
	v_or_b32_e32 v9, v9, v25
	v_or3_b32 v24, v9, v26, v24
.LBB0_59:                               ;   in Loop: Header=BB0_3 Depth=1
	s_or_b32 exec_lo, exec_lo, s0
	v_readfirstlane_b32 s0, v33
	v_mov_b32_e32 v31, 0
	v_mov_b32_e32 v32, 0
	s_delay_alu instid0(VALU_DEP_3) | instskip(NEXT) | instid1(VALU_DEP_1)
	v_cmp_eq_u32_e64 s0, s0, v33
	s_and_saveexec_b32 s1, s0
	s_cbranch_execz .LBB0_65
; %bb.60:                               ;   in Loop: Header=BB0_3 Depth=1
	s_waitcnt lgkmcnt(0)
	global_load_b64 v[27:28], v10, s[2:3] offset:24 glc
	s_waitcnt vmcnt(0)
	buffer_gl1_inv
	buffer_gl0_inv
	s_clause 0x1
	global_load_b64 v[25:26], v10, s[2:3] offset:40
	global_load_b64 v[31:32], v10, s[2:3]
	s_mov_b32 s4, exec_lo
	s_waitcnt vmcnt(1)
	v_and_b32_e32 v9, v26, v28
	v_and_b32_e32 v25, v25, v27
	s_delay_alu instid0(VALU_DEP_2) | instskip(NEXT) | instid1(VALU_DEP_2)
	v_mul_lo_u32 v9, v9, 24
	v_mul_hi_u32 v26, v25, 24
	v_mul_lo_u32 v25, v25, 24
	s_delay_alu instid0(VALU_DEP_2) | instskip(SKIP_1) | instid1(VALU_DEP_2)
	v_add_nc_u32_e32 v9, v26, v9
	s_waitcnt vmcnt(0)
	v_add_co_u32 v25, vcc_lo, v31, v25
	s_delay_alu instid0(VALU_DEP_2)
	v_add_co_ci_u32_e32 v26, vcc_lo, v32, v9, vcc_lo
	global_load_b64 v[25:26], v[25:26], off glc
	s_waitcnt vmcnt(0)
	global_atomic_cmpswap_b64 v[31:32], v10, v[25:28], s[2:3] offset:24 glc
	s_waitcnt vmcnt(0)
	buffer_gl1_inv
	buffer_gl0_inv
	v_cmpx_ne_u64_e64 v[31:32], v[27:28]
	s_cbranch_execz .LBB0_64
; %bb.61:                               ;   in Loop: Header=BB0_3 Depth=1
	s_mov_b32 s5, 0
	.p2align	6
.LBB0_62:                               ;   Parent Loop BB0_3 Depth=1
                                        ; =>  This Inner Loop Header: Depth=2
	s_sleep 1
	s_clause 0x1
	global_load_b64 v[25:26], v10, s[2:3] offset:40
	global_load_b64 v[34:35], v10, s[2:3]
	v_dual_mov_b32 v27, v31 :: v_dual_mov_b32 v28, v32
	s_waitcnt vmcnt(1)
	s_delay_alu instid0(VALU_DEP_1) | instskip(SKIP_1) | instid1(VALU_DEP_1)
	v_and_b32_e32 v9, v25, v27
	s_waitcnt vmcnt(0)
	v_mad_u64_u32 v[31:32], null, v9, 24, v[34:35]
	s_delay_alu instid0(VALU_DEP_1) | instskip(NEXT) | instid1(VALU_DEP_1)
	v_dual_mov_b32 v9, v32 :: v_dual_and_b32 v34, v26, v28
	v_mad_u64_u32 v[25:26], null, v34, 24, v[9:10]
	s_delay_alu instid0(VALU_DEP_1)
	v_mov_b32_e32 v32, v25
	global_load_b64 v[25:26], v[31:32], off glc
	s_waitcnt vmcnt(0)
	global_atomic_cmpswap_b64 v[31:32], v10, v[25:28], s[2:3] offset:24 glc
	s_waitcnt vmcnt(0)
	buffer_gl1_inv
	buffer_gl0_inv
	v_cmp_eq_u64_e32 vcc_lo, v[31:32], v[27:28]
	s_or_b32 s5, vcc_lo, s5
	s_delay_alu instid0(SALU_CYCLE_1)
	s_and_not1_b32 exec_lo, exec_lo, s5
	s_cbranch_execnz .LBB0_62
; %bb.63:                               ;   in Loop: Header=BB0_3 Depth=1
	s_or_b32 exec_lo, exec_lo, s5
.LBB0_64:                               ;   in Loop: Header=BB0_3 Depth=1
	s_delay_alu instid0(SALU_CYCLE_1)
	s_or_b32 exec_lo, exec_lo, s4
.LBB0_65:                               ;   in Loop: Header=BB0_3 Depth=1
	s_delay_alu instid0(SALU_CYCLE_1)
	s_or_b32 exec_lo, exec_lo, s1
	s_waitcnt lgkmcnt(0)
	s_clause 0x1
	global_load_b64 v[34:35], v10, s[2:3] offset:40
	global_load_b128 v[25:28], v10, s[2:3]
	v_readfirstlane_b32 s4, v31
	v_readfirstlane_b32 s5, v32
	s_mov_b32 s1, exec_lo
	s_waitcnt vmcnt(1)
	v_readfirstlane_b32 s6, v34
	v_readfirstlane_b32 s7, v35
	s_delay_alu instid0(VALU_DEP_1) | instskip(NEXT) | instid1(SALU_CYCLE_1)
	s_and_b64 s[6:7], s[4:5], s[6:7]
	s_mul_i32 s13, s7, 24
	s_mul_hi_u32 s14, s6, 24
	s_mul_i32 s15, s6, 24
	s_add_i32 s14, s14, s13
	s_waitcnt vmcnt(0)
	v_add_co_u32 v31, vcc_lo, v25, s15
	v_add_co_ci_u32_e32 v32, vcc_lo, s14, v26, vcc_lo
	s_and_saveexec_b32 s13, s0
	s_cbranch_execz .LBB0_67
; %bb.66:                               ;   in Loop: Header=BB0_3 Depth=1
	v_mov_b32_e32 v9, s1
	global_store_b128 v[31:32], v[9:12], off offset:8
.LBB0_67:                               ;   in Loop: Header=BB0_3 Depth=1
	s_or_b32 exec_lo, exec_lo, s13
	v_cmp_lt_u64_e32 vcc_lo, 56, v[4:5]
	v_or_b32_e32 v9, 0, v1
	v_or_b32_e32 v34, v0, v6
	v_lshl_add_u32 v35, v29, 2, 28
	s_lshl_b64 s[6:7], s[6:7], 12
	s_delay_alu instid0(SALU_CYCLE_1) | instskip(NEXT) | instid1(VALU_DEP_1)
	v_add_co_u32 v27, s1, v27, s6
	v_add_co_ci_u32_e64 v28, s1, s7, v28, s1
	v_dual_cndmask_b32 v1, v9, v1 :: v_dual_cndmask_b32 v0, v34, v0
	v_and_b32_e32 v9, 0x1e0, v35
	v_lshlrev_b32_e32 v34, 6, v33
	v_readfirstlane_b32 s6, v27
	v_readfirstlane_b32 s7, v28
	s_delay_alu instid0(VALU_DEP_4)
	v_and_or_b32 v0, 0xffffff1f, v0, v9
	s_clause 0x3
	global_store_b128 v34, v[0:3], s[6:7]
	global_store_b128 v34, v[13:16], s[6:7] offset:16
	global_store_b128 v34, v[17:20], s[6:7] offset:32
	;; [unrolled: 1-line block ×3, first 2 shown]
	s_and_saveexec_b32 s1, s0
	s_cbranch_execz .LBB0_75
; %bb.68:                               ;   in Loop: Header=BB0_3 Depth=1
	s_clause 0x1
	global_load_b64 v[17:18], v10, s[2:3] offset:32 glc
	global_load_b64 v[0:1], v10, s[2:3] offset:40
	v_dual_mov_b32 v15, s4 :: v_dual_mov_b32 v16, s5
	s_waitcnt vmcnt(0)
	v_readfirstlane_b32 s6, v0
	v_readfirstlane_b32 s7, v1
	s_delay_alu instid0(VALU_DEP_1) | instskip(NEXT) | instid1(SALU_CYCLE_1)
	s_and_b64 s[6:7], s[6:7], s[4:5]
	s_mul_i32 s7, s7, 24
	s_mul_hi_u32 s13, s6, 24
	s_mul_i32 s6, s6, 24
	s_add_i32 s13, s13, s7
	v_add_co_u32 v13, vcc_lo, v25, s6
	v_add_co_ci_u32_e32 v14, vcc_lo, s13, v26, vcc_lo
	s_mov_b32 s6, exec_lo
	global_store_b64 v[13:14], v[17:18], off
	s_waitcnt_vscnt null, 0x0
	global_atomic_cmpswap_b64 v[2:3], v10, v[15:18], s[2:3] offset:32 glc
	s_waitcnt vmcnt(0)
	v_cmpx_ne_u64_e64 v[2:3], v[17:18]
	s_cbranch_execz .LBB0_71
; %bb.69:                               ;   in Loop: Header=BB0_3 Depth=1
	s_mov_b32 s7, 0
.LBB0_70:                               ;   Parent Loop BB0_3 Depth=1
                                        ; =>  This Inner Loop Header: Depth=2
	v_dual_mov_b32 v0, s4 :: v_dual_mov_b32 v1, s5
	s_sleep 1
	global_store_b64 v[13:14], v[2:3], off
	s_waitcnt_vscnt null, 0x0
	global_atomic_cmpswap_b64 v[0:1], v10, v[0:3], s[2:3] offset:32 glc
	s_waitcnt vmcnt(0)
	v_cmp_eq_u64_e32 vcc_lo, v[0:1], v[2:3]
	v_dual_mov_b32 v3, v1 :: v_dual_mov_b32 v2, v0
	s_or_b32 s7, vcc_lo, s7
	s_delay_alu instid0(SALU_CYCLE_1)
	s_and_not1_b32 exec_lo, exec_lo, s7
	s_cbranch_execnz .LBB0_70
.LBB0_71:                               ;   in Loop: Header=BB0_3 Depth=1
	s_or_b32 exec_lo, exec_lo, s6
	global_load_b64 v[0:1], v10, s[2:3] offset:16
	s_mov_b32 s7, exec_lo
	s_mov_b32 s6, exec_lo
	v_mbcnt_lo_u32_b32 v2, s7, 0
	s_delay_alu instid0(VALU_DEP_1)
	v_cmpx_eq_u32_e32 0, v2
	s_cbranch_execz .LBB0_73
; %bb.72:                               ;   in Loop: Header=BB0_3 Depth=1
	s_bcnt1_i32_b32 s7, s7
	s_delay_alu instid0(SALU_CYCLE_1)
	v_mov_b32_e32 v9, s7
	s_waitcnt vmcnt(0)
	global_atomic_add_u64 v[0:1], v[9:10], off offset:8
.LBB0_73:                               ;   in Loop: Header=BB0_3 Depth=1
	s_or_b32 exec_lo, exec_lo, s6
	s_waitcnt vmcnt(0)
	global_load_b64 v[2:3], v[0:1], off offset:16
	s_waitcnt vmcnt(0)
	v_cmp_eq_u64_e32 vcc_lo, 0, v[2:3]
	s_cbranch_vccnz .LBB0_75
; %bb.74:                               ;   in Loop: Header=BB0_3 Depth=1
	global_load_b32 v9, v[0:1], off offset:24
	s_waitcnt vmcnt(0)
	v_and_b32_e32 v0, 0xffffff, v9
	s_waitcnt_vscnt null, 0x0
	global_store_b64 v[2:3], v[9:10], off
	v_readfirstlane_b32 m0, v0
	s_sendmsg sendmsg(MSG_INTERRUPT)
.LBB0_75:                               ;   in Loop: Header=BB0_3 Depth=1
	s_or_b32 exec_lo, exec_lo, s1
	v_add_co_u32 v0, vcc_lo, v27, v34
	v_add_co_ci_u32_e32 v1, vcc_lo, 0, v28, vcc_lo
	s_branch .LBB0_79
	.p2align	6
.LBB0_76:                               ;   in Loop: Header=BB0_79 Depth=2
	s_or_b32 exec_lo, exec_lo, s1
	s_delay_alu instid0(VALU_DEP_1) | instskip(NEXT) | instid1(VALU_DEP_1)
	v_readfirstlane_b32 s1, v2
	s_cmp_eq_u32 s1, 0
	s_cbranch_scc1 .LBB0_78
; %bb.77:                               ;   in Loop: Header=BB0_79 Depth=2
	s_sleep 1
	s_cbranch_execnz .LBB0_79
	s_branch .LBB0_81
	.p2align	6
.LBB0_78:                               ;   in Loop: Header=BB0_3 Depth=1
	s_branch .LBB0_81
.LBB0_79:                               ;   Parent Loop BB0_3 Depth=1
                                        ; =>  This Inner Loop Header: Depth=2
	v_mov_b32_e32 v2, 1
	s_and_saveexec_b32 s1, s0
	s_cbranch_execz .LBB0_76
; %bb.80:                               ;   in Loop: Header=BB0_79 Depth=2
	global_load_b32 v2, v[31:32], off offset:20 glc
	s_waitcnt vmcnt(0)
	buffer_gl1_inv
	buffer_gl0_inv
	v_and_b32_e32 v2, 1, v2
	s_branch .LBB0_76
.LBB0_81:                               ;   in Loop: Header=BB0_3 Depth=1
	global_load_b128 v[0:3], v[0:1], off
	s_and_saveexec_b32 s1, s0
	s_cbranch_execz .LBB0_2
; %bb.82:                               ;   in Loop: Header=BB0_3 Depth=1
	s_clause 0x2
	global_load_b64 v[2:3], v10, s[2:3] offset:40
	global_load_b64 v[17:18], v10, s[2:3] offset:24 glc
	global_load_b64 v[15:16], v10, s[2:3]
	s_waitcnt vmcnt(2)
	v_add_co_u32 v9, vcc_lo, v2, 1
	v_add_co_ci_u32_e32 v19, vcc_lo, 0, v3, vcc_lo
	s_delay_alu instid0(VALU_DEP_2) | instskip(NEXT) | instid1(VALU_DEP_2)
	v_add_co_u32 v13, vcc_lo, v9, s4
	v_add_co_ci_u32_e32 v14, vcc_lo, s5, v19, vcc_lo
	s_delay_alu instid0(VALU_DEP_1) | instskip(SKIP_1) | instid1(VALU_DEP_1)
	v_cmp_eq_u64_e32 vcc_lo, 0, v[13:14]
	v_dual_cndmask_b32 v14, v14, v19 :: v_dual_cndmask_b32 v13, v13, v9
	v_and_b32_e32 v3, v14, v3
	s_delay_alu instid0(VALU_DEP_2) | instskip(NEXT) | instid1(VALU_DEP_2)
	v_and_b32_e32 v2, v13, v2
	v_mul_lo_u32 v3, v3, 24
	s_delay_alu instid0(VALU_DEP_2) | instskip(SKIP_1) | instid1(VALU_DEP_2)
	v_mul_hi_u32 v9, v2, 24
	v_mul_lo_u32 v2, v2, 24
	v_add_nc_u32_e32 v3, v9, v3
	s_waitcnt vmcnt(0)
	s_delay_alu instid0(VALU_DEP_2) | instskip(SKIP_1) | instid1(VALU_DEP_3)
	v_add_co_u32 v2, vcc_lo, v15, v2
	v_mov_b32_e32 v15, v17
	v_add_co_ci_u32_e32 v3, vcc_lo, v16, v3, vcc_lo
	v_mov_b32_e32 v16, v18
	global_store_b64 v[2:3], v[17:18], off
	s_waitcnt_vscnt null, 0x0
	global_atomic_cmpswap_b64 v[15:16], v10, v[13:16], s[2:3] offset:24 glc
	s_waitcnt vmcnt(0)
	v_cmp_ne_u64_e32 vcc_lo, v[15:16], v[17:18]
	s_and_b32 exec_lo, exec_lo, vcc_lo
	s_cbranch_execz .LBB0_2
; %bb.83:                               ;   in Loop: Header=BB0_3 Depth=1
	s_mov_b32 s0, 0
.LBB0_84:                               ;   Parent Loop BB0_3 Depth=1
                                        ; =>  This Inner Loop Header: Depth=2
	s_sleep 1
	global_store_b64 v[2:3], v[15:16], off
	s_waitcnt_vscnt null, 0x0
	global_atomic_cmpswap_b64 v[17:18], v10, v[13:16], s[2:3] offset:24 glc
	s_waitcnt vmcnt(0)
	v_cmp_eq_u64_e32 vcc_lo, v[17:18], v[15:16]
	v_dual_mov_b32 v15, v17 :: v_dual_mov_b32 v16, v18
	s_or_b32 s0, vcc_lo, s0
	s_delay_alu instid0(SALU_CYCLE_1)
	s_and_not1_b32 exec_lo, exec_lo, s0
	s_cbranch_execnz .LBB0_84
	s_branch .LBB0_2
.LBB0_85:
	s_or_b32 exec_lo, exec_lo, s12
                                        ; implicit-def: $vgpr0
                                        ; implicit-def: $vgpr33
                                        ; implicit-def: $vgpr1
.LBB0_86:
	s_and_not1_saveexec_b32 s1, s10
	s_cbranch_execz .LBB0_108
; %bb.87:
	s_load_b64 s[2:3], s[8:9], 0x50
	v_readfirstlane_b32 s0, v33
	v_mov_b32_e32 v8, 0
	v_mov_b32_e32 v9, 0
	s_delay_alu instid0(VALU_DEP_3) | instskip(NEXT) | instid1(VALU_DEP_1)
	v_cmp_eq_u32_e64 s0, s0, v33
	s_and_saveexec_b32 s4, s0
	s_cbranch_execz .LBB0_93
; %bb.88:
	s_waitcnt vmcnt(0)
	v_mov_b32_e32 v2, 0
	s_mov_b32 s5, exec_lo
	s_waitcnt lgkmcnt(0)
	global_load_b64 v[5:6], v2, s[2:3] offset:24 glc
	s_waitcnt vmcnt(0)
	buffer_gl1_inv
	buffer_gl0_inv
	s_clause 0x1
	global_load_b64 v[3:4], v2, s[2:3] offset:40
	global_load_b64 v[7:8], v2, s[2:3]
	s_waitcnt vmcnt(1)
	v_and_b32_e32 v3, v3, v5
	v_and_b32_e32 v4, v4, v6
	s_delay_alu instid0(VALU_DEP_2) | instskip(NEXT) | instid1(VALU_DEP_2)
	v_mul_hi_u32 v9, v3, 24
	v_mul_lo_u32 v4, v4, 24
	v_mul_lo_u32 v3, v3, 24
	s_delay_alu instid0(VALU_DEP_2) | instskip(SKIP_1) | instid1(VALU_DEP_2)
	v_add_nc_u32_e32 v4, v9, v4
	s_waitcnt vmcnt(0)
	v_add_co_u32 v3, vcc_lo, v7, v3
	s_delay_alu instid0(VALU_DEP_2)
	v_add_co_ci_u32_e32 v4, vcc_lo, v8, v4, vcc_lo
	global_load_b64 v[3:4], v[3:4], off glc
	s_waitcnt vmcnt(0)
	global_atomic_cmpswap_b64 v[8:9], v2, v[3:6], s[2:3] offset:24 glc
	s_waitcnt vmcnt(0)
	buffer_gl1_inv
	buffer_gl0_inv
	v_cmpx_ne_u64_e64 v[8:9], v[5:6]
	s_cbranch_execz .LBB0_92
; %bb.89:
	s_mov_b32 s6, 0
	.p2align	6
.LBB0_90:                               ; =>This Inner Loop Header: Depth=1
	s_sleep 1
	s_clause 0x1
	global_load_b64 v[3:4], v2, s[2:3] offset:40
	global_load_b64 v[10:11], v2, s[2:3]
	v_dual_mov_b32 v5, v8 :: v_dual_mov_b32 v6, v9
	s_waitcnt vmcnt(1)
	s_delay_alu instid0(VALU_DEP_1) | instskip(NEXT) | instid1(VALU_DEP_2)
	v_and_b32_e32 v3, v3, v5
	v_and_b32_e32 v4, v4, v6
	s_waitcnt vmcnt(0)
	s_delay_alu instid0(VALU_DEP_2) | instskip(NEXT) | instid1(VALU_DEP_1)
	v_mad_u64_u32 v[7:8], null, v3, 24, v[10:11]
	v_mov_b32_e32 v3, v8
	s_delay_alu instid0(VALU_DEP_1)
	v_mad_u64_u32 v[8:9], null, v4, 24, v[3:4]
	global_load_b64 v[3:4], v[7:8], off glc
	s_waitcnt vmcnt(0)
	global_atomic_cmpswap_b64 v[8:9], v2, v[3:6], s[2:3] offset:24 glc
	s_waitcnt vmcnt(0)
	buffer_gl1_inv
	buffer_gl0_inv
	v_cmp_eq_u64_e32 vcc_lo, v[8:9], v[5:6]
	s_or_b32 s6, vcc_lo, s6
	s_delay_alu instid0(SALU_CYCLE_1)
	s_and_not1_b32 exec_lo, exec_lo, s6
	s_cbranch_execnz .LBB0_90
; %bb.91:
	s_or_b32 exec_lo, exec_lo, s6
.LBB0_92:
	s_delay_alu instid0(SALU_CYCLE_1)
	s_or_b32 exec_lo, exec_lo, s5
.LBB0_93:
	s_delay_alu instid0(SALU_CYCLE_1)
	s_or_b32 exec_lo, exec_lo, s4
	s_waitcnt vmcnt(0)
	v_mov_b32_e32 v2, 0
	v_readfirstlane_b32 s4, v8
	v_readfirstlane_b32 s5, v9
	s_mov_b32 s8, exec_lo
	s_waitcnt lgkmcnt(0)
	s_clause 0x1
	global_load_b64 v[10:11], v2, s[2:3] offset:40
	global_load_b128 v[4:7], v2, s[2:3]
	s_waitcnt vmcnt(1)
	v_readfirstlane_b32 s6, v10
	v_readfirstlane_b32 s7, v11
	s_delay_alu instid0(VALU_DEP_1) | instskip(NEXT) | instid1(SALU_CYCLE_1)
	s_and_b64 s[6:7], s[4:5], s[6:7]
	s_mul_i32 s9, s7, 24
	s_mul_hi_u32 s10, s6, 24
	s_mul_i32 s11, s6, 24
	s_add_i32 s10, s10, s9
	s_waitcnt vmcnt(0)
	v_add_co_u32 v8, vcc_lo, v4, s11
	v_add_co_ci_u32_e32 v9, vcc_lo, s10, v5, vcc_lo
	s_and_saveexec_b32 s9, s0
	s_cbranch_execz .LBB0_95
; %bb.94:
	v_dual_mov_b32 v10, s8 :: v_dual_mov_b32 v11, v2
	v_dual_mov_b32 v12, 2 :: v_dual_mov_b32 v13, 1
	global_store_b128 v[8:9], v[10:13], off offset:8
.LBB0_95:
	s_or_b32 exec_lo, exec_lo, s9
	s_lshl_b64 s[6:7], s[6:7], 12
	s_mov_b32 s8, 0
	v_add_co_u32 v6, vcc_lo, v6, s6
	v_add_co_ci_u32_e32 v7, vcc_lo, s7, v7, vcc_lo
	s_mov_b32 s11, s8
	s_mov_b32 s9, s8
	;; [unrolled: 1-line block ×3, first 2 shown]
	v_and_or_b32 v0, 0xffffff1f, v0, 32
	v_dual_mov_b32 v3, v2 :: v_dual_lshlrev_b32 v14, 6, v33
	v_readfirstlane_b32 s6, v6
	v_readfirstlane_b32 s7, v7
	v_dual_mov_b32 v13, s11 :: v_dual_mov_b32 v12, s10
	v_dual_mov_b32 v11, s9 :: v_dual_mov_b32 v10, s8
	s_clause 0x3
	global_store_b128 v14, v[0:3], s[6:7]
	global_store_b128 v14, v[10:13], s[6:7] offset:16
	global_store_b128 v14, v[10:13], s[6:7] offset:32
	;; [unrolled: 1-line block ×3, first 2 shown]
	s_and_saveexec_b32 s6, s0
	s_cbranch_execz .LBB0_102
; %bb.96:
	v_mov_b32_e32 v6, 0
	s_mov_b32 s7, exec_lo
	s_clause 0x1
	global_load_b64 v[12:13], v6, s[2:3] offset:32 glc
	global_load_b64 v[0:1], v6, s[2:3] offset:40
	v_dual_mov_b32 v11, s5 :: v_dual_mov_b32 v10, s4
	s_waitcnt vmcnt(0)
	v_and_b32_e32 v1, s5, v1
	v_and_b32_e32 v0, s4, v0
	s_delay_alu instid0(VALU_DEP_2) | instskip(NEXT) | instid1(VALU_DEP_2)
	v_mul_lo_u32 v1, v1, 24
	v_mul_hi_u32 v2, v0, 24
	v_mul_lo_u32 v0, v0, 24
	s_delay_alu instid0(VALU_DEP_2) | instskip(NEXT) | instid1(VALU_DEP_2)
	v_add_nc_u32_e32 v1, v2, v1
	v_add_co_u32 v4, vcc_lo, v4, v0
	s_delay_alu instid0(VALU_DEP_2)
	v_add_co_ci_u32_e32 v5, vcc_lo, v5, v1, vcc_lo
	global_store_b64 v[4:5], v[12:13], off
	s_waitcnt_vscnt null, 0x0
	global_atomic_cmpswap_b64 v[2:3], v6, v[10:13], s[2:3] offset:32 glc
	s_waitcnt vmcnt(0)
	v_cmpx_ne_u64_e64 v[2:3], v[12:13]
	s_cbranch_execz .LBB0_98
.LBB0_97:                               ; =>This Inner Loop Header: Depth=1
	v_dual_mov_b32 v0, s4 :: v_dual_mov_b32 v1, s5
	s_sleep 1
	global_store_b64 v[4:5], v[2:3], off
	s_waitcnt_vscnt null, 0x0
	global_atomic_cmpswap_b64 v[0:1], v6, v[0:3], s[2:3] offset:32 glc
	s_waitcnt vmcnt(0)
	v_cmp_eq_u64_e32 vcc_lo, v[0:1], v[2:3]
	v_dual_mov_b32 v3, v1 :: v_dual_mov_b32 v2, v0
	s_or_b32 s8, vcc_lo, s8
	s_delay_alu instid0(SALU_CYCLE_1)
	s_and_not1_b32 exec_lo, exec_lo, s8
	s_cbranch_execnz .LBB0_97
.LBB0_98:
	s_or_b32 exec_lo, exec_lo, s7
	v_mov_b32_e32 v3, 0
	s_mov_b32 s8, exec_lo
	s_mov_b32 s7, exec_lo
	v_mbcnt_lo_u32_b32 v2, s8, 0
	global_load_b64 v[0:1], v3, s[2:3] offset:16
	v_cmpx_eq_u32_e32 0, v2
	s_cbranch_execz .LBB0_100
; %bb.99:
	s_bcnt1_i32_b32 s8, s8
	s_delay_alu instid0(SALU_CYCLE_1)
	v_mov_b32_e32 v2, s8
	s_waitcnt vmcnt(0)
	global_atomic_add_u64 v[0:1], v[2:3], off offset:8
.LBB0_100:
	s_or_b32 exec_lo, exec_lo, s7
	s_waitcnt vmcnt(0)
	global_load_b64 v[2:3], v[0:1], off offset:16
	s_waitcnt vmcnt(0)
	v_cmp_eq_u64_e32 vcc_lo, 0, v[2:3]
	s_cbranch_vccnz .LBB0_102
; %bb.101:
	global_load_b32 v0, v[0:1], off offset:24
	s_waitcnt vmcnt(0)
	v_dual_mov_b32 v1, 0 :: v_dual_and_b32 v4, 0xffffff, v0
	s_waitcnt_vscnt null, 0x0
	global_store_b64 v[2:3], v[0:1], off
	v_readfirstlane_b32 m0, v4
	s_sendmsg sendmsg(MSG_INTERRUPT)
.LBB0_102:
	s_or_b32 exec_lo, exec_lo, s6
	s_branch .LBB0_106
	.p2align	6
.LBB0_103:                              ;   in Loop: Header=BB0_106 Depth=1
	s_or_b32 exec_lo, exec_lo, s6
	s_delay_alu instid0(VALU_DEP_1) | instskip(NEXT) | instid1(VALU_DEP_1)
	v_readfirstlane_b32 s6, v0
	s_cmp_eq_u32 s6, 0
	s_cbranch_scc1 .LBB0_105
; %bb.104:                              ;   in Loop: Header=BB0_106 Depth=1
	s_sleep 1
	s_cbranch_execnz .LBB0_106
	s_branch .LBB0_109
	.p2align	6
.LBB0_105:
	s_branch .LBB0_109
.LBB0_106:                              ; =>This Inner Loop Header: Depth=1
	v_mov_b32_e32 v0, 1
	s_and_saveexec_b32 s6, s0
	s_cbranch_execz .LBB0_103
; %bb.107:                              ;   in Loop: Header=BB0_106 Depth=1
	global_load_b32 v0, v[8:9], off offset:20 glc
	s_waitcnt vmcnt(0)
	buffer_gl1_inv
	buffer_gl0_inv
	v_and_b32_e32 v0, 1, v0
	s_branch .LBB0_103
.LBB0_108:
	s_or_b32 exec_lo, exec_lo, s1
	s_waitcnt vmcnt(0) lgkmcnt(0)
	s_setpc_b64 s[30:31]
.LBB0_109:
	s_and_saveexec_b32 s6, s0
	s_cbranch_execz .LBB0_113
; %bb.110:
	v_mov_b32_e32 v6, 0
	s_clause 0x2
	global_load_b64 v[2:3], v6, s[2:3] offset:40
	global_load_b64 v[7:8], v6, s[2:3] offset:24 glc
	global_load_b64 v[4:5], v6, s[2:3]
	s_waitcnt vmcnt(2)
	v_add_co_u32 v9, vcc_lo, v2, 1
	v_add_co_ci_u32_e32 v10, vcc_lo, 0, v3, vcc_lo
	s_delay_alu instid0(VALU_DEP_2) | instskip(NEXT) | instid1(VALU_DEP_2)
	v_add_co_u32 v0, vcc_lo, v9, s4
	v_add_co_ci_u32_e32 v1, vcc_lo, s5, v10, vcc_lo
	s_delay_alu instid0(VALU_DEP_1) | instskip(SKIP_1) | instid1(VALU_DEP_1)
	v_cmp_eq_u64_e32 vcc_lo, 0, v[0:1]
	v_dual_cndmask_b32 v1, v1, v10 :: v_dual_cndmask_b32 v0, v0, v9
	v_and_b32_e32 v3, v1, v3
	s_delay_alu instid0(VALU_DEP_2) | instskip(NEXT) | instid1(VALU_DEP_2)
	v_and_b32_e32 v2, v0, v2
	v_mul_lo_u32 v3, v3, 24
	s_delay_alu instid0(VALU_DEP_2) | instskip(SKIP_1) | instid1(VALU_DEP_2)
	v_mul_hi_u32 v9, v2, 24
	v_mul_lo_u32 v2, v2, 24
	v_add_nc_u32_e32 v3, v9, v3
	s_waitcnt vmcnt(0)
	s_delay_alu instid0(VALU_DEP_2) | instskip(SKIP_1) | instid1(VALU_DEP_3)
	v_add_co_u32 v4, vcc_lo, v4, v2
	v_mov_b32_e32 v2, v7
	v_add_co_ci_u32_e32 v5, vcc_lo, v5, v3, vcc_lo
	v_mov_b32_e32 v3, v8
	global_store_b64 v[4:5], v[7:8], off
	s_waitcnt_vscnt null, 0x0
	global_atomic_cmpswap_b64 v[2:3], v6, v[0:3], s[2:3] offset:24 glc
	s_waitcnt vmcnt(0)
	v_cmp_ne_u64_e32 vcc_lo, v[2:3], v[7:8]
	s_and_b32 exec_lo, exec_lo, vcc_lo
	s_cbranch_execz .LBB0_113
; %bb.111:
	s_mov_b32 s0, 0
.LBB0_112:                              ; =>This Inner Loop Header: Depth=1
	s_sleep 1
	global_store_b64 v[4:5], v[2:3], off
	s_waitcnt_vscnt null, 0x0
	global_atomic_cmpswap_b64 v[7:8], v6, v[0:3], s[2:3] offset:24 glc
	s_waitcnt vmcnt(0)
	v_cmp_eq_u64_e32 vcc_lo, v[7:8], v[2:3]
	v_dual_mov_b32 v2, v7 :: v_dual_mov_b32 v3, v8
	s_or_b32 s0, vcc_lo, s0
	s_delay_alu instid0(SALU_CYCLE_1)
	s_and_not1_b32 exec_lo, exec_lo, s0
	s_cbranch_execnz .LBB0_112
.LBB0_113:
	s_or_b32 exec_lo, exec_lo, s6
	s_delay_alu instid0(SALU_CYCLE_1)
	s_or_b32 exec_lo, exec_lo, s1
	s_waitcnt lgkmcnt(0)
	s_setpc_b64 s[30:31]
.Lfunc_end0:
	.size	__ockl_fprintf_append_string_n, .Lfunc_end0-__ockl_fprintf_append_string_n
                                        ; -- End function
	.section	.AMDGPU.csdata,"",@progbits
; Function info:
; codeLenInByte = 4740
; NumSgprs: 34
; NumVgprs: 36
; ScratchSize: 0
; MemoryBound: 0
	.text
	.p2align	2                               ; -- Begin function __assert_fail
	.type	__assert_fail,@function
__assert_fail:                          ; @__assert_fail
; %bb.0:
	s_waitcnt vmcnt(0) expcnt(0) lgkmcnt(0)
	s_mov_b32 s20, s33
	s_mov_b32 s33, s32
	s_or_saveexec_b32 s0, -1
	scratch_store_b32 off, v40, s33 offset:48 ; 4-byte Folded Spill
	s_mov_b32 exec_lo, s0
	v_writelane_b32 v40, s30, 0
	s_add_i32 s32, s32, 64
	v_writelane_b32 v40, s31, 1
	s_getpc_b64 s[0:1]
	s_add_u32 s0, s0, __const.__assert_fail.fmt@rel32@lo+4
	s_addc_u32 s1, s1, __const.__assert_fail.fmt@rel32@hi+12
	s_getpc_b64 s[2:3]
	s_add_u32 s2, s2, __const.__assert_fail.fmt@rel32@lo+20
	s_addc_u32 s3, s3, __const.__assert_fail.fmt@rel32@hi+28
	v_mbcnt_lo_u32_b32 v35, -1, 0
	s_clause 0x1
	s_load_b128 s[4:7], s[0:1], 0x0
	s_load_b128 s[12:15], s[2:3], 0x0
	s_load_b64 s[2:3], s[8:9], 0x50
	v_dual_mov_b32 v5, v1 :: v_dual_mov_b32 v4, v0
	v_mov_b32_e32 v14, 0x73256020
	v_readfirstlane_b32 s0, v35
	v_mov_b32_e32 v0, 0
	v_dual_mov_b32 v2, 0 :: v_dual_mov_b32 v3, 0xa2e
	v_mov_b32_e32 v15, 0x61662027
	v_dual_mov_b32 v16, 0x64656c69 :: v_dual_mov_b32 v1, 0
	v_cmp_eq_u32_e64 s0, s0, v35
	s_waitcnt lgkmcnt(0)
	v_dual_mov_b32 v9, s7 :: v_dual_mov_b32 v8, s6
	v_dual_mov_b32 v7, s5 :: v_dual_mov_b32 v6, s4
	;; [unrolled: 1-line block ×4, first 2 shown]
	s_clause 0x4
	scratch_store_b128 off, v[6:9], s33
	scratch_store_b128 off, v[10:13], s33 offset:16
	scratch_store_b8 off, v2, s33 offset:46
	scratch_store_b16 off, v3, s33 offset:44
	scratch_store_b96 off, v[14:16], s33 offset:32
	s_and_saveexec_b32 s1, s0
	s_cbranch_execz .LBB1_6
; %bb.1:
	global_load_b64 v[8:9], v2, s[2:3] offset:24 glc
	s_waitcnt vmcnt(0)
	buffer_gl1_inv
	buffer_gl0_inv
	s_clause 0x1
	global_load_b64 v[0:1], v2, s[2:3] offset:40
	global_load_b64 v[6:7], v2, s[2:3]
	s_mov_b32 s4, exec_lo
	s_waitcnt vmcnt(1)
	v_and_b32_e32 v1, v1, v9
	v_and_b32_e32 v0, v0, v8
	s_delay_alu instid0(VALU_DEP_2) | instskip(NEXT) | instid1(VALU_DEP_2)
	v_mul_lo_u32 v1, v1, 24
	v_mul_hi_u32 v3, v0, 24
	v_mul_lo_u32 v0, v0, 24
	s_delay_alu instid0(VALU_DEP_2) | instskip(SKIP_1) | instid1(VALU_DEP_2)
	v_add_nc_u32_e32 v1, v3, v1
	s_waitcnt vmcnt(0)
	v_add_co_u32 v0, vcc_lo, v6, v0
	s_delay_alu instid0(VALU_DEP_2)
	v_add_co_ci_u32_e32 v1, vcc_lo, v7, v1, vcc_lo
	global_load_b64 v[6:7], v[0:1], off glc
	s_waitcnt vmcnt(0)
	global_atomic_cmpswap_b64 v[0:1], v2, v[6:9], s[2:3] offset:24 glc
	s_waitcnt vmcnt(0)
	buffer_gl1_inv
	buffer_gl0_inv
	v_cmpx_ne_u64_e64 v[0:1], v[8:9]
	s_cbranch_execz .LBB1_5
; %bb.2:
	s_mov_b32 s5, 0
	.p2align	6
.LBB1_3:                                ; =>This Inner Loop Header: Depth=1
	s_sleep 1
	s_clause 0x1
	global_load_b64 v[6:7], v2, s[2:3] offset:40
	global_load_b64 v[10:11], v2, s[2:3]
	v_dual_mov_b32 v9, v1 :: v_dual_mov_b32 v8, v0
	s_waitcnt vmcnt(1)
	s_delay_alu instid0(VALU_DEP_1) | instskip(SKIP_1) | instid1(VALU_DEP_1)
	v_and_b32_e32 v3, v6, v8
	s_waitcnt vmcnt(0)
	v_mad_u64_u32 v[0:1], null, v3, 24, v[10:11]
	v_and_b32_e32 v3, v7, v9
	s_delay_alu instid0(VALU_DEP_1) | instskip(NEXT) | instid1(VALU_DEP_1)
	v_mad_u64_u32 v[6:7], null, v3, 24, v[1:2]
	v_mov_b32_e32 v1, v6
	global_load_b64 v[6:7], v[0:1], off glc
	s_waitcnt vmcnt(0)
	global_atomic_cmpswap_b64 v[0:1], v2, v[6:9], s[2:3] offset:24 glc
	s_waitcnt vmcnt(0)
	buffer_gl1_inv
	buffer_gl0_inv
	v_cmp_eq_u64_e32 vcc_lo, v[0:1], v[8:9]
	s_or_b32 s5, vcc_lo, s5
	s_delay_alu instid0(SALU_CYCLE_1)
	s_and_not1_b32 exec_lo, exec_lo, s5
	s_cbranch_execnz .LBB1_3
; %bb.4:
	s_or_b32 exec_lo, exec_lo, s5
.LBB1_5:
	s_delay_alu instid0(SALU_CYCLE_1)
	s_or_b32 exec_lo, exec_lo, s4
.LBB1_6:
	s_delay_alu instid0(SALU_CYCLE_1)
	s_or_b32 exec_lo, exec_lo, s1
	s_clause 0x1
	global_load_b64 v[10:11], v2, s[2:3] offset:40
	global_load_b128 v[6:9], v2, s[2:3]
	v_readfirstlane_b32 s4, v0
	v_readfirstlane_b32 s5, v1
	s_mov_b32 s1, exec_lo
	s_waitcnt vmcnt(1)
	v_readfirstlane_b32 s6, v10
	v_readfirstlane_b32 s7, v11
	s_delay_alu instid0(VALU_DEP_1) | instskip(NEXT) | instid1(SALU_CYCLE_1)
	s_and_b64 s[6:7], s[4:5], s[6:7]
	s_mul_i32 s10, s7, 24
	s_mul_hi_u32 s11, s6, 24
	s_mul_i32 s12, s6, 24
	s_add_i32 s11, s11, s10
	s_waitcnt vmcnt(0)
	v_add_co_u32 v10, vcc_lo, v6, s12
	v_add_co_ci_u32_e32 v11, vcc_lo, s11, v7, vcc_lo
	s_and_saveexec_b32 s10, s0
	s_cbranch_execz .LBB1_8
; %bb.7:
	v_dual_mov_b32 v0, s1 :: v_dual_mov_b32 v1, 0
	v_dual_mov_b32 v2, 2 :: v_dual_mov_b32 v3, 1
	global_store_b128 v[10:11], v[0:3], off offset:8
.LBB1_8:
	s_or_b32 exec_lo, exec_lo, s10
	s_lshl_b64 s[6:7], s[6:7], 12
	v_dual_mov_b32 v1, 0 :: v_dual_lshlrev_b32 v34, 6, v35
	v_add_co_u32 v8, vcc_lo, v8, s6
	v_add_co_ci_u32_e32 v9, vcc_lo, s7, v9, vcc_lo
	s_mov_b32 s12, 0
	s_delay_alu instid0(VALU_DEP_2)
	v_add_co_u32 v12, vcc_lo, v8, v34
	s_mov_b32 s15, s12
	s_mov_b32 s13, s12
	;; [unrolled: 1-line block ×3, first 2 shown]
	v_dual_mov_b32 v0, 33 :: v_dual_mov_b32 v3, v1
	v_dual_mov_b32 v2, 1 :: v_dual_mov_b32 v17, s15
	v_readfirstlane_b32 s6, v8
	v_readfirstlane_b32 s7, v9
	v_add_co_ci_u32_e32 v13, vcc_lo, 0, v9, vcc_lo
	v_dual_mov_b32 v16, s14 :: v_dual_mov_b32 v15, s13
	v_mov_b32_e32 v14, s12
	s_clause 0x3
	global_store_b128 v34, v[0:3], s[6:7]
	global_store_b128 v34, v[14:17], s[6:7] offset:16
	global_store_b128 v34, v[14:17], s[6:7] offset:32
	;; [unrolled: 1-line block ×3, first 2 shown]
	s_and_saveexec_b32 s1, s0
	s_cbranch_execz .LBB1_16
; %bb.9:
	s_clause 0x1
	global_load_b64 v[16:17], v1, s[2:3] offset:32 glc
	global_load_b64 v[2:3], v1, s[2:3] offset:40
	v_mov_b32_e32 v14, s4
	s_mov_b32 s6, exec_lo
	s_waitcnt vmcnt(0)
	v_dual_mov_b32 v15, s5 :: v_dual_and_b32 v0, s5, v3
	v_and_b32_e32 v2, s4, v2
	s_delay_alu instid0(VALU_DEP_2) | instskip(NEXT) | instid1(VALU_DEP_2)
	v_mul_lo_u32 v0, v0, 24
	v_mul_hi_u32 v3, v2, 24
	v_mul_lo_u32 v2, v2, 24
	s_delay_alu instid0(VALU_DEP_2) | instskip(NEXT) | instid1(VALU_DEP_2)
	v_add_nc_u32_e32 v0, v3, v0
	v_add_co_u32 v2, vcc_lo, v6, v2
	s_delay_alu instid0(VALU_DEP_2)
	v_add_co_ci_u32_e32 v3, vcc_lo, v7, v0, vcc_lo
	global_store_b64 v[2:3], v[16:17], off
	s_waitcnt_vscnt null, 0x0
	global_atomic_cmpswap_b64 v[8:9], v1, v[14:17], s[2:3] offset:32 glc
	s_waitcnt vmcnt(0)
	v_cmpx_ne_u64_e64 v[8:9], v[16:17]
	s_cbranch_execz .LBB1_12
; %bb.10:
	s_mov_b32 s7, 0
.LBB1_11:                               ; =>This Inner Loop Header: Depth=1
	v_dual_mov_b32 v6, s4 :: v_dual_mov_b32 v7, s5
	s_sleep 1
	global_store_b64 v[2:3], v[8:9], off
	s_waitcnt_vscnt null, 0x0
	global_atomic_cmpswap_b64 v[6:7], v1, v[6:9], s[2:3] offset:32 glc
	s_waitcnt vmcnt(0)
	v_cmp_eq_u64_e32 vcc_lo, v[6:7], v[8:9]
	v_dual_mov_b32 v9, v7 :: v_dual_mov_b32 v8, v6
	s_or_b32 s7, vcc_lo, s7
	s_delay_alu instid0(SALU_CYCLE_1)
	s_and_not1_b32 exec_lo, exec_lo, s7
	s_cbranch_execnz .LBB1_11
.LBB1_12:
	s_or_b32 exec_lo, exec_lo, s6
	v_mov_b32_e32 v3, 0
	s_mov_b32 s7, exec_lo
	s_mov_b32 s6, exec_lo
	v_mbcnt_lo_u32_b32 v2, s7, 0
	global_load_b64 v[0:1], v3, s[2:3] offset:16
	v_cmpx_eq_u32_e32 0, v2
	s_cbranch_execz .LBB1_14
; %bb.13:
	s_bcnt1_i32_b32 s7, s7
	s_delay_alu instid0(SALU_CYCLE_1)
	v_mov_b32_e32 v2, s7
	s_waitcnt vmcnt(0)
	global_atomic_add_u64 v[0:1], v[2:3], off offset:8
.LBB1_14:
	s_or_b32 exec_lo, exec_lo, s6
	s_waitcnt vmcnt(0)
	global_load_b64 v[2:3], v[0:1], off offset:16
	s_waitcnt vmcnt(0)
	v_cmp_eq_u64_e32 vcc_lo, 0, v[2:3]
	s_cbranch_vccnz .LBB1_16
; %bb.15:
	global_load_b32 v0, v[0:1], off offset:24
	s_waitcnt vmcnt(0)
	v_dual_mov_b32 v1, 0 :: v_dual_and_b32 v6, 0xffffff, v0
	s_waitcnt_vscnt null, 0x0
	global_store_b64 v[2:3], v[0:1], off
	v_readfirstlane_b32 m0, v6
	s_sendmsg sendmsg(MSG_INTERRUPT)
.LBB1_16:
	s_or_b32 exec_lo, exec_lo, s1
	s_branch .LBB1_20
	.p2align	6
.LBB1_17:                               ;   in Loop: Header=BB1_20 Depth=1
	s_or_b32 exec_lo, exec_lo, s1
	s_delay_alu instid0(VALU_DEP_1) | instskip(NEXT) | instid1(VALU_DEP_1)
	v_readfirstlane_b32 s1, v0
	s_cmp_eq_u32 s1, 0
	s_cbranch_scc1 .LBB1_19
; %bb.18:                               ;   in Loop: Header=BB1_20 Depth=1
	s_sleep 1
	s_cbranch_execnz .LBB1_20
	s_branch .LBB1_22
	.p2align	6
.LBB1_19:
	s_branch .LBB1_22
.LBB1_20:                               ; =>This Inner Loop Header: Depth=1
	v_mov_b32_e32 v0, 1
	s_and_saveexec_b32 s1, s0
	s_cbranch_execz .LBB1_17
; %bb.21:                               ;   in Loop: Header=BB1_20 Depth=1
	global_load_b32 v0, v[10:11], off offset:20 glc
	s_waitcnt vmcnt(0)
	buffer_gl1_inv
	buffer_gl0_inv
	v_and_b32_e32 v0, 1, v0
	s_branch .LBB1_17
.LBB1_22:
	global_load_b64 v[6:7], v[12:13], off
	s_and_saveexec_b32 s1, s0
	s_cbranch_execz .LBB1_26
; %bb.23:
	v_mov_b32_e32 v10, 0
	s_clause 0x2
	global_load_b64 v[2:3], v10, s[2:3] offset:40
	global_load_b64 v[11:12], v10, s[2:3] offset:24 glc
	global_load_b64 v[8:9], v10, s[2:3]
	s_waitcnt vmcnt(2)
	v_add_co_u32 v13, vcc_lo, v2, 1
	v_add_co_ci_u32_e32 v14, vcc_lo, 0, v3, vcc_lo
	s_delay_alu instid0(VALU_DEP_2) | instskip(NEXT) | instid1(VALU_DEP_2)
	v_add_co_u32 v0, vcc_lo, v13, s4
	v_add_co_ci_u32_e32 v1, vcc_lo, s5, v14, vcc_lo
	s_delay_alu instid0(VALU_DEP_1) | instskip(SKIP_1) | instid1(VALU_DEP_1)
	v_cmp_eq_u64_e32 vcc_lo, 0, v[0:1]
	v_dual_cndmask_b32 v1, v1, v14 :: v_dual_cndmask_b32 v0, v0, v13
	v_and_b32_e32 v3, v1, v3
	s_delay_alu instid0(VALU_DEP_2) | instskip(NEXT) | instid1(VALU_DEP_2)
	v_and_b32_e32 v2, v0, v2
	v_mul_lo_u32 v3, v3, 24
	s_delay_alu instid0(VALU_DEP_2) | instskip(SKIP_1) | instid1(VALU_DEP_2)
	v_mul_hi_u32 v13, v2, 24
	v_mul_lo_u32 v2, v2, 24
	v_add_nc_u32_e32 v3, v13, v3
	s_waitcnt vmcnt(0)
	s_delay_alu instid0(VALU_DEP_2) | instskip(SKIP_1) | instid1(VALU_DEP_3)
	v_add_co_u32 v8, vcc_lo, v8, v2
	v_mov_b32_e32 v2, v11
	v_add_co_ci_u32_e32 v9, vcc_lo, v9, v3, vcc_lo
	v_mov_b32_e32 v3, v12
	global_store_b64 v[8:9], v[11:12], off
	s_waitcnt_vscnt null, 0x0
	global_atomic_cmpswap_b64 v[2:3], v10, v[0:3], s[2:3] offset:24 glc
	s_waitcnt vmcnt(0)
	v_cmp_ne_u64_e32 vcc_lo, v[2:3], v[11:12]
	s_and_b32 exec_lo, exec_lo, vcc_lo
	s_cbranch_execz .LBB1_26
; %bb.24:
	s_mov_b32 s0, 0
.LBB1_25:                               ; =>This Inner Loop Header: Depth=1
	s_sleep 1
	global_store_b64 v[8:9], v[2:3], off
	s_waitcnt_vscnt null, 0x0
	global_atomic_cmpswap_b64 v[11:12], v10, v[0:3], s[2:3] offset:24 glc
	s_waitcnt vmcnt(0)
	v_cmp_eq_u64_e32 vcc_lo, v[11:12], v[2:3]
	v_dual_mov_b32 v2, v11 :: v_dual_mov_b32 v3, v12
	s_or_b32 s0, vcc_lo, s0
	s_delay_alu instid0(SALU_CYCLE_1)
	s_and_not1_b32 exec_lo, exec_lo, s0
	s_cbranch_execnz .LBB1_25
.LBB1_26:
	s_or_b32 exec_lo, exec_lo, s1
	v_mov_b32_e32 v1, s33
	s_mov_b32 s0, 0
.LBB1_27:                               ; =>This Inner Loop Header: Depth=1
	scratch_load_u8 v2, v1, off
	v_add_nc_u32_e32 v0, 1, v1
	s_delay_alu instid0(VALU_DEP_1) | instskip(SKIP_3) | instid1(SALU_CYCLE_1)
	v_mov_b32_e32 v1, v0
	s_waitcnt vmcnt(0)
	v_cmp_eq_u16_e32 vcc_lo, 0, v2
	s_or_b32 s0, vcc_lo, s0
	s_and_not1_b32 exec_lo, exec_lo, s0
	s_cbranch_execnz .LBB1_27
; %bb.28:
	s_or_b32 exec_lo, exec_lo, s0
	v_cmp_ne_u32_e64 s0, -1, s33
	s_delay_alu instid0(VALU_DEP_1)
	s_and_b32 vcc_lo, exec_lo, s0
	s_cbranch_vccz .LBB1_113
; %bb.29:
	v_subrev_nc_u32_e32 v28, s33, v0
	v_dual_mov_b32 v9, 0 :: v_dual_and_b32 v36, 2, v6
	v_dual_mov_b32 v1, v7 :: v_dual_and_b32 v0, -3, v6
	s_delay_alu instid0(VALU_DEP_3)
	v_ashrrev_i32_e32 v29, 31, v28
	v_dual_mov_b32 v37, s33 :: v_dual_mov_b32 v10, 2
	v_mov_b32_e32 v11, 1
	s_mov_b32 s11, 0
	s_mov_b32 s10, 0
	s_branch .LBB1_31
.LBB1_30:                               ;   in Loop: Header=BB1_31 Depth=1
	s_or_b32 exec_lo, exec_lo, s1
	v_sub_co_u32 v28, vcc_lo, v28, v30
	v_sub_co_ci_u32_e32 v29, vcc_lo, v29, v31, vcc_lo
	v_add_nc_u32_e32 v37, v37, v30
	s_delay_alu instid0(VALU_DEP_2) | instskip(SKIP_1) | instid1(SALU_CYCLE_1)
	v_cmp_eq_u64_e32 vcc_lo, 0, v[28:29]
	s_or_b32 s10, vcc_lo, s10
	s_and_not1_b32 exec_lo, exec_lo, s10
	s_cbranch_execz .LBB1_114
.LBB1_31:                               ; =>This Loop Header: Depth=1
                                        ;     Child Loop BB1_34 Depth 2
                                        ;     Child Loop BB1_42 Depth 2
	;; [unrolled: 1-line block ×11, first 2 shown]
	v_cmp_gt_u64_e32 vcc_lo, 56, v[28:29]
	s_mov_b32 s4, exec_lo
                                        ; implicit-def: $vgpr2_vgpr3
                                        ; implicit-def: $sgpr1
	v_dual_cndmask_b32 v31, 0, v29 :: v_dual_cndmask_b32 v30, 56, v28
	v_cmpx_gt_u64_e32 8, v[28:29]
	s_xor_b32 s4, exec_lo, s4
	s_cbranch_execz .LBB1_37
; %bb.32:                               ;   in Loop: Header=BB1_31 Depth=1
	s_waitcnt vmcnt(0)
	v_mov_b32_e32 v2, 0
	v_mov_b32_e32 v3, 0
	s_mov_b64 s[0:1], 0
	s_mov_b32 s5, exec_lo
	v_cmpx_ne_u64_e32 0, v[28:29]
	s_cbranch_execz .LBB1_36
; %bb.33:                               ;   in Loop: Header=BB1_31 Depth=1
	v_lshlrev_b64 v[12:13], 3, v[30:31]
	v_mov_b32_e32 v2, 0
	v_dual_mov_b32 v3, 0 :: v_dual_mov_b32 v8, v37
	s_mov_b32 s6, 0
.LBB1_34:                               ;   Parent Loop BB1_31 Depth=1
                                        ; =>  This Inner Loop Header: Depth=2
	scratch_load_u8 v13, v8, off
	v_mov_b32_e32 v14, s11
	v_add_nc_u32_e32 v8, 1, v8
	s_waitcnt vmcnt(0)
	v_and_b32_e32 v13, 0xffff, v13
	s_delay_alu instid0(VALU_DEP_1) | instskip(SKIP_3) | instid1(VALU_DEP_2)
	v_lshlrev_b64 v[13:14], s0, v[13:14]
	s_add_u32 s0, s0, 8
	s_addc_u32 s1, s1, 0
	v_cmp_eq_u32_e32 vcc_lo, s0, v12
	v_or_b32_e32 v3, v14, v3
	s_delay_alu instid0(VALU_DEP_3) | instskip(SKIP_1) | instid1(SALU_CYCLE_1)
	v_or_b32_e32 v2, v13, v2
	s_or_b32 s6, vcc_lo, s6
	s_and_not1_b32 exec_lo, exec_lo, s6
	s_cbranch_execnz .LBB1_34
; %bb.35:                               ;   in Loop: Header=BB1_31 Depth=1
	s_or_b32 exec_lo, exec_lo, s6
.LBB1_36:                               ;   in Loop: Header=BB1_31 Depth=1
	s_delay_alu instid0(SALU_CYCLE_1)
	s_or_b32 exec_lo, exec_lo, s5
	s_mov_b32 s1, 0
.LBB1_37:                               ;   in Loop: Header=BB1_31 Depth=1
	s_or_saveexec_b32 s0, s4
	v_mov_b32_e32 v14, s1
	v_mov_b32_e32 v8, v37
	s_xor_b32 exec_lo, exec_lo, s0
	s_cbranch_execz .LBB1_39
; %bb.38:                               ;   in Loop: Header=BB1_31 Depth=1
	scratch_load_b64 v[2:3], v37, off
	v_add_nc_u32_e32 v14, -8, v30
	s_waitcnt vmcnt(0)
	v_and_b32_e32 v8, 0xff, v3
	v_and_b32_e32 v12, 0xff00, v3
	;; [unrolled: 1-line block ×4, first 2 shown]
	v_or3_b32 v2, v2, 0, 0
	s_delay_alu instid0(VALU_DEP_4) | instskip(NEXT) | instid1(VALU_DEP_1)
	v_or_b32_e32 v8, v8, v12
	v_or3_b32 v3, v8, v13, v3
	v_add_nc_u32_e32 v8, 8, v37
.LBB1_39:                               ;   in Loop: Header=BB1_31 Depth=1
	s_or_b32 exec_lo, exec_lo, s0
                                        ; implicit-def: $vgpr12_vgpr13
                                        ; implicit-def: $sgpr1
	s_delay_alu instid0(SALU_CYCLE_1)
	s_mov_b32 s0, exec_lo
	v_cmpx_gt_u32_e32 8, v14
	s_xor_b32 s4, exec_lo, s0
	s_cbranch_execz .LBB1_45
; %bb.40:                               ;   in Loop: Header=BB1_31 Depth=1
	v_mov_b32_e32 v12, 0
	v_mov_b32_e32 v13, 0
	s_mov_b32 s5, exec_lo
	v_cmpx_ne_u32_e32 0, v14
	s_cbranch_execz .LBB1_44
; %bb.41:                               ;   in Loop: Header=BB1_31 Depth=1
	v_mov_b32_e32 v12, 0
	v_mov_b32_e32 v13, 0
	s_mov_b64 s[0:1], 0
	s_mov_b32 s6, 0
	s_mov_b32 s7, 0
	.p2align	6
.LBB1_42:                               ;   Parent Loop BB1_31 Depth=1
                                        ; =>  This Inner Loop Header: Depth=2
	s_delay_alu instid0(SALU_CYCLE_1) | instskip(SKIP_1) | instid1(SALU_CYCLE_1)
	v_dual_mov_b32 v16, s11 :: v_dual_add_nc_u32 v15, s7, v8
	s_add_i32 s7, s7, 1
	v_cmp_eq_u32_e32 vcc_lo, s7, v14
	scratch_load_u8 v15, v15, off
	s_waitcnt vmcnt(0)
	v_and_b32_e32 v15, 0xffff, v15
	s_delay_alu instid0(VALU_DEP_1) | instskip(SKIP_3) | instid1(VALU_DEP_1)
	v_lshlrev_b64 v[15:16], s0, v[15:16]
	s_add_u32 s0, s0, 8
	s_addc_u32 s1, s1, 0
	s_or_b32 s6, vcc_lo, s6
	v_or_b32_e32 v13, v16, v13
	s_delay_alu instid0(VALU_DEP_2)
	v_or_b32_e32 v12, v15, v12
	s_and_not1_b32 exec_lo, exec_lo, s6
	s_cbranch_execnz .LBB1_42
; %bb.43:                               ;   in Loop: Header=BB1_31 Depth=1
	s_or_b32 exec_lo, exec_lo, s6
.LBB1_44:                               ;   in Loop: Header=BB1_31 Depth=1
	s_delay_alu instid0(SALU_CYCLE_1)
	s_or_b32 exec_lo, exec_lo, s5
	s_mov_b32 s1, 0
                                        ; implicit-def: $vgpr14
.LBB1_45:                               ;   in Loop: Header=BB1_31 Depth=1
	s_or_saveexec_b32 s0, s4
	v_mov_b32_e32 v16, s1
	s_xor_b32 exec_lo, exec_lo, s0
	s_cbranch_execz .LBB1_47
; %bb.46:                               ;   in Loop: Header=BB1_31 Depth=1
	scratch_load_b64 v[12:13], v8, off
	v_add_nc_u32_e32 v8, 8, v8
	s_waitcnt vmcnt(0)
	v_and_b32_e32 v15, 0xff, v13
	v_and_b32_e32 v16, 0xff00, v13
	;; [unrolled: 1-line block ×4, first 2 shown]
	v_or3_b32 v12, v12, 0, 0
	s_delay_alu instid0(VALU_DEP_4) | instskip(SKIP_1) | instid1(VALU_DEP_2)
	v_or_b32_e32 v15, v15, v16
	v_add_nc_u32_e32 v16, -8, v14
	v_or3_b32 v13, v15, v17, v13
.LBB1_47:                               ;   in Loop: Header=BB1_31 Depth=1
	s_or_b32 exec_lo, exec_lo, s0
                                        ; implicit-def: $sgpr1
	s_delay_alu instid0(SALU_CYCLE_1) | instskip(NEXT) | instid1(VALU_DEP_1)
	s_mov_b32 s0, exec_lo
	v_cmpx_gt_u32_e32 8, v16
	s_xor_b32 s4, exec_lo, s0
	s_cbranch_execz .LBB1_53
; %bb.48:                               ;   in Loop: Header=BB1_31 Depth=1
	v_mov_b32_e32 v14, 0
	v_mov_b32_e32 v15, 0
	s_mov_b32 s5, exec_lo
	v_cmpx_ne_u32_e32 0, v16
	s_cbranch_execz .LBB1_52
; %bb.49:                               ;   in Loop: Header=BB1_31 Depth=1
	v_mov_b32_e32 v14, 0
	v_mov_b32_e32 v15, 0
	s_mov_b64 s[0:1], 0
	s_mov_b32 s6, 0
	s_mov_b32 s7, 0
	.p2align	6
.LBB1_50:                               ;   Parent Loop BB1_31 Depth=1
                                        ; =>  This Inner Loop Header: Depth=2
	s_delay_alu instid0(SALU_CYCLE_1) | instskip(SKIP_1) | instid1(SALU_CYCLE_1)
	v_dual_mov_b32 v18, s11 :: v_dual_add_nc_u32 v17, s7, v8
	s_add_i32 s7, s7, 1
	v_cmp_eq_u32_e32 vcc_lo, s7, v16
	scratch_load_u8 v17, v17, off
	s_waitcnt vmcnt(0)
	v_and_b32_e32 v17, 0xffff, v17
	s_delay_alu instid0(VALU_DEP_1) | instskip(SKIP_3) | instid1(VALU_DEP_1)
	v_lshlrev_b64 v[17:18], s0, v[17:18]
	s_add_u32 s0, s0, 8
	s_addc_u32 s1, s1, 0
	s_or_b32 s6, vcc_lo, s6
	v_or_b32_e32 v15, v18, v15
	s_delay_alu instid0(VALU_DEP_2)
	v_or_b32_e32 v14, v17, v14
	s_and_not1_b32 exec_lo, exec_lo, s6
	s_cbranch_execnz .LBB1_50
; %bb.51:                               ;   in Loop: Header=BB1_31 Depth=1
	s_or_b32 exec_lo, exec_lo, s6
.LBB1_52:                               ;   in Loop: Header=BB1_31 Depth=1
	s_delay_alu instid0(SALU_CYCLE_1)
	s_or_b32 exec_lo, exec_lo, s5
	s_mov_b32 s1, 0
                                        ; implicit-def: $vgpr16
.LBB1_53:                               ;   in Loop: Header=BB1_31 Depth=1
	s_or_saveexec_b32 s0, s4
	v_mov_b32_e32 v18, s1
	s_xor_b32 exec_lo, exec_lo, s0
	s_cbranch_execz .LBB1_55
; %bb.54:                               ;   in Loop: Header=BB1_31 Depth=1
	scratch_load_b64 v[14:15], v8, off
	v_add_nc_u32_e32 v8, 8, v8
	s_waitcnt vmcnt(0)
	v_and_b32_e32 v17, 0xff, v15
	v_and_b32_e32 v18, 0xff00, v15
	;; [unrolled: 1-line block ×4, first 2 shown]
	v_or3_b32 v14, v14, 0, 0
	s_delay_alu instid0(VALU_DEP_4) | instskip(SKIP_1) | instid1(VALU_DEP_2)
	v_or_b32_e32 v17, v17, v18
	v_add_nc_u32_e32 v18, -8, v16
	v_or3_b32 v15, v17, v19, v15
.LBB1_55:                               ;   in Loop: Header=BB1_31 Depth=1
	s_or_b32 exec_lo, exec_lo, s0
                                        ; implicit-def: $vgpr16_vgpr17
                                        ; implicit-def: $sgpr1
	s_delay_alu instid0(SALU_CYCLE_1) | instskip(NEXT) | instid1(VALU_DEP_1)
	s_mov_b32 s0, exec_lo
	v_cmpx_gt_u32_e32 8, v18
	s_xor_b32 s4, exec_lo, s0
	s_cbranch_execz .LBB1_61
; %bb.56:                               ;   in Loop: Header=BB1_31 Depth=1
	v_mov_b32_e32 v16, 0
	v_mov_b32_e32 v17, 0
	s_mov_b32 s5, exec_lo
	v_cmpx_ne_u32_e32 0, v18
	s_cbranch_execz .LBB1_60
; %bb.57:                               ;   in Loop: Header=BB1_31 Depth=1
	v_mov_b32_e32 v16, 0
	v_mov_b32_e32 v17, 0
	s_mov_b64 s[0:1], 0
	s_mov_b32 s6, 0
	s_mov_b32 s7, 0
	.p2align	6
.LBB1_58:                               ;   Parent Loop BB1_31 Depth=1
                                        ; =>  This Inner Loop Header: Depth=2
	s_delay_alu instid0(SALU_CYCLE_1) | instskip(SKIP_1) | instid1(SALU_CYCLE_1)
	v_dual_mov_b32 v20, s11 :: v_dual_add_nc_u32 v19, s7, v8
	s_add_i32 s7, s7, 1
	v_cmp_eq_u32_e32 vcc_lo, s7, v18
	scratch_load_u8 v19, v19, off
	s_waitcnt vmcnt(0)
	v_and_b32_e32 v19, 0xffff, v19
	s_delay_alu instid0(VALU_DEP_1) | instskip(SKIP_3) | instid1(VALU_DEP_1)
	v_lshlrev_b64 v[19:20], s0, v[19:20]
	s_add_u32 s0, s0, 8
	s_addc_u32 s1, s1, 0
	s_or_b32 s6, vcc_lo, s6
	v_or_b32_e32 v17, v20, v17
	s_delay_alu instid0(VALU_DEP_2)
	v_or_b32_e32 v16, v19, v16
	s_and_not1_b32 exec_lo, exec_lo, s6
	s_cbranch_execnz .LBB1_58
; %bb.59:                               ;   in Loop: Header=BB1_31 Depth=1
	s_or_b32 exec_lo, exec_lo, s6
.LBB1_60:                               ;   in Loop: Header=BB1_31 Depth=1
	s_delay_alu instid0(SALU_CYCLE_1)
	s_or_b32 exec_lo, exec_lo, s5
	s_mov_b32 s1, 0
                                        ; implicit-def: $vgpr18
.LBB1_61:                               ;   in Loop: Header=BB1_31 Depth=1
	s_or_saveexec_b32 s0, s4
	v_mov_b32_e32 v20, s1
	s_xor_b32 exec_lo, exec_lo, s0
	s_cbranch_execz .LBB1_63
; %bb.62:                               ;   in Loop: Header=BB1_31 Depth=1
	scratch_load_b64 v[16:17], v8, off
	v_add_nc_u32_e32 v8, 8, v8
	s_waitcnt vmcnt(0)
	v_and_b32_e32 v19, 0xff, v17
	v_and_b32_e32 v20, 0xff00, v17
	v_and_b32_e32 v21, 0xff0000, v17
	v_and_b32_e32 v17, 0xff000000, v17
	v_or3_b32 v16, v16, 0, 0
	s_delay_alu instid0(VALU_DEP_4) | instskip(SKIP_1) | instid1(VALU_DEP_2)
	v_or_b32_e32 v19, v19, v20
	v_add_nc_u32_e32 v20, -8, v18
	v_or3_b32 v17, v19, v21, v17
.LBB1_63:                               ;   in Loop: Header=BB1_31 Depth=1
	s_or_b32 exec_lo, exec_lo, s0
                                        ; implicit-def: $sgpr1
	s_delay_alu instid0(SALU_CYCLE_1) | instskip(NEXT) | instid1(VALU_DEP_1)
	s_mov_b32 s0, exec_lo
	v_cmpx_gt_u32_e32 8, v20
	s_xor_b32 s4, exec_lo, s0
	s_cbranch_execz .LBB1_69
; %bb.64:                               ;   in Loop: Header=BB1_31 Depth=1
	v_mov_b32_e32 v18, 0
	v_mov_b32_e32 v19, 0
	s_mov_b32 s5, exec_lo
	v_cmpx_ne_u32_e32 0, v20
	s_cbranch_execz .LBB1_68
; %bb.65:                               ;   in Loop: Header=BB1_31 Depth=1
	v_mov_b32_e32 v18, 0
	v_mov_b32_e32 v19, 0
	s_mov_b64 s[0:1], 0
	s_mov_b32 s6, 0
	s_mov_b32 s7, 0
	.p2align	6
.LBB1_66:                               ;   Parent Loop BB1_31 Depth=1
                                        ; =>  This Inner Loop Header: Depth=2
	s_delay_alu instid0(SALU_CYCLE_1) | instskip(SKIP_1) | instid1(SALU_CYCLE_1)
	v_dual_mov_b32 v22, s11 :: v_dual_add_nc_u32 v21, s7, v8
	s_add_i32 s7, s7, 1
	v_cmp_eq_u32_e32 vcc_lo, s7, v20
	scratch_load_u8 v21, v21, off
	s_waitcnt vmcnt(0)
	v_and_b32_e32 v21, 0xffff, v21
	s_delay_alu instid0(VALU_DEP_1) | instskip(SKIP_3) | instid1(VALU_DEP_1)
	v_lshlrev_b64 v[21:22], s0, v[21:22]
	s_add_u32 s0, s0, 8
	s_addc_u32 s1, s1, 0
	s_or_b32 s6, vcc_lo, s6
	v_or_b32_e32 v19, v22, v19
	s_delay_alu instid0(VALU_DEP_2)
	v_or_b32_e32 v18, v21, v18
	s_and_not1_b32 exec_lo, exec_lo, s6
	s_cbranch_execnz .LBB1_66
; %bb.67:                               ;   in Loop: Header=BB1_31 Depth=1
	s_or_b32 exec_lo, exec_lo, s6
.LBB1_68:                               ;   in Loop: Header=BB1_31 Depth=1
	s_delay_alu instid0(SALU_CYCLE_1)
	s_or_b32 exec_lo, exec_lo, s5
	s_mov_b32 s1, 0
                                        ; implicit-def: $vgpr20
.LBB1_69:                               ;   in Loop: Header=BB1_31 Depth=1
	s_or_saveexec_b32 s0, s4
	v_mov_b32_e32 v22, s1
	s_xor_b32 exec_lo, exec_lo, s0
	s_cbranch_execz .LBB1_71
; %bb.70:                               ;   in Loop: Header=BB1_31 Depth=1
	scratch_load_b64 v[18:19], v8, off
	v_add_nc_u32_e32 v8, 8, v8
	s_waitcnt vmcnt(0)
	v_and_b32_e32 v21, 0xff, v19
	v_and_b32_e32 v22, 0xff00, v19
	v_and_b32_e32 v23, 0xff0000, v19
	v_and_b32_e32 v19, 0xff000000, v19
	v_or3_b32 v18, v18, 0, 0
	s_delay_alu instid0(VALU_DEP_4) | instskip(SKIP_1) | instid1(VALU_DEP_2)
	v_or_b32_e32 v21, v21, v22
	v_add_nc_u32_e32 v22, -8, v20
	v_or3_b32 v19, v21, v23, v19
.LBB1_71:                               ;   in Loop: Header=BB1_31 Depth=1
	s_or_b32 exec_lo, exec_lo, s0
                                        ; implicit-def: $vgpr20_vgpr21
                                        ; implicit-def: $sgpr1
	s_delay_alu instid0(SALU_CYCLE_1) | instskip(NEXT) | instid1(VALU_DEP_1)
	s_mov_b32 s0, exec_lo
	v_cmpx_gt_u32_e32 8, v22
	s_xor_b32 s4, exec_lo, s0
	s_cbranch_execz .LBB1_77
; %bb.72:                               ;   in Loop: Header=BB1_31 Depth=1
	v_mov_b32_e32 v20, 0
	v_mov_b32_e32 v21, 0
	s_mov_b32 s5, exec_lo
	v_cmpx_ne_u32_e32 0, v22
	s_cbranch_execz .LBB1_76
; %bb.73:                               ;   in Loop: Header=BB1_31 Depth=1
	v_mov_b32_e32 v20, 0
	v_mov_b32_e32 v21, 0
	s_mov_b64 s[0:1], 0
	s_mov_b32 s6, 0
	s_mov_b32 s7, 0
	.p2align	6
.LBB1_74:                               ;   Parent Loop BB1_31 Depth=1
                                        ; =>  This Inner Loop Header: Depth=2
	s_delay_alu instid0(SALU_CYCLE_1) | instskip(SKIP_1) | instid1(SALU_CYCLE_1)
	v_dual_mov_b32 v24, s11 :: v_dual_add_nc_u32 v23, s7, v8
	s_add_i32 s7, s7, 1
	v_cmp_eq_u32_e32 vcc_lo, s7, v22
	scratch_load_u8 v23, v23, off
	s_waitcnt vmcnt(0)
	v_and_b32_e32 v23, 0xffff, v23
	s_delay_alu instid0(VALU_DEP_1) | instskip(SKIP_3) | instid1(VALU_DEP_1)
	v_lshlrev_b64 v[23:24], s0, v[23:24]
	s_add_u32 s0, s0, 8
	s_addc_u32 s1, s1, 0
	s_or_b32 s6, vcc_lo, s6
	v_or_b32_e32 v21, v24, v21
	s_delay_alu instid0(VALU_DEP_2)
	v_or_b32_e32 v20, v23, v20
	s_and_not1_b32 exec_lo, exec_lo, s6
	s_cbranch_execnz .LBB1_74
; %bb.75:                               ;   in Loop: Header=BB1_31 Depth=1
	s_or_b32 exec_lo, exec_lo, s6
.LBB1_76:                               ;   in Loop: Header=BB1_31 Depth=1
	s_delay_alu instid0(SALU_CYCLE_1)
	s_or_b32 exec_lo, exec_lo, s5
	s_mov_b32 s1, 0
                                        ; implicit-def: $vgpr22
.LBB1_77:                               ;   in Loop: Header=BB1_31 Depth=1
	s_or_saveexec_b32 s0, s4
	v_mov_b32_e32 v24, s1
	s_xor_b32 exec_lo, exec_lo, s0
	s_cbranch_execz .LBB1_79
; %bb.78:                               ;   in Loop: Header=BB1_31 Depth=1
	scratch_load_b64 v[20:21], v8, off
	v_add_nc_u32_e32 v8, 8, v8
	s_waitcnt vmcnt(0)
	v_and_b32_e32 v23, 0xff, v21
	v_and_b32_e32 v24, 0xff00, v21
	;; [unrolled: 1-line block ×4, first 2 shown]
	v_or3_b32 v20, v20, 0, 0
	s_delay_alu instid0(VALU_DEP_4) | instskip(SKIP_1) | instid1(VALU_DEP_2)
	v_or_b32_e32 v23, v23, v24
	v_add_nc_u32_e32 v24, -8, v22
	v_or3_b32 v21, v23, v25, v21
.LBB1_79:                               ;   in Loop: Header=BB1_31 Depth=1
	s_or_b32 exec_lo, exec_lo, s0
	s_delay_alu instid0(SALU_CYCLE_1) | instskip(NEXT) | instid1(VALU_DEP_1)
	s_mov_b32 s0, exec_lo
	v_cmpx_gt_u32_e32 8, v24
	s_xor_b32 s4, exec_lo, s0
	s_cbranch_execz .LBB1_85
; %bb.80:                               ;   in Loop: Header=BB1_31 Depth=1
	v_mov_b32_e32 v22, 0
	v_mov_b32_e32 v23, 0
	s_mov_b32 s5, exec_lo
	v_cmpx_ne_u32_e32 0, v24
	s_cbranch_execz .LBB1_84
; %bb.81:                               ;   in Loop: Header=BB1_31 Depth=1
	v_mov_b32_e32 v22, 0
	v_mov_b32_e32 v23, 0
	s_mov_b64 s[0:1], 0
	s_mov_b32 s6, 0
	.p2align	6
.LBB1_82:                               ;   Parent Loop BB1_31 Depth=1
                                        ; =>  This Inner Loop Header: Depth=2
	scratch_load_u8 v25, v8, off
	v_mov_b32_e32 v26, s11
	v_add_nc_u32_e32 v24, -1, v24
	v_add_nc_u32_e32 v8, 1, v8
	s_delay_alu instid0(VALU_DEP_2) | instskip(SKIP_2) | instid1(VALU_DEP_1)
	v_cmp_eq_u32_e32 vcc_lo, 0, v24
	s_waitcnt vmcnt(0)
	v_and_b32_e32 v25, 0xffff, v25
	v_lshlrev_b64 v[25:26], s0, v[25:26]
	s_add_u32 s0, s0, 8
	s_addc_u32 s1, s1, 0
	s_or_b32 s6, vcc_lo, s6
	s_delay_alu instid0(VALU_DEP_1) | instskip(NEXT) | instid1(VALU_DEP_2)
	v_or_b32_e32 v23, v26, v23
	v_or_b32_e32 v22, v25, v22
	s_and_not1_b32 exec_lo, exec_lo, s6
	s_cbranch_execnz .LBB1_82
; %bb.83:                               ;   in Loop: Header=BB1_31 Depth=1
	s_or_b32 exec_lo, exec_lo, s6
.LBB1_84:                               ;   in Loop: Header=BB1_31 Depth=1
	s_delay_alu instid0(SALU_CYCLE_1)
	s_or_b32 exec_lo, exec_lo, s5
                                        ; implicit-def: $vgpr8
.LBB1_85:                               ;   in Loop: Header=BB1_31 Depth=1
	s_and_not1_saveexec_b32 s0, s4
	s_cbranch_execz .LBB1_87
; %bb.86:                               ;   in Loop: Header=BB1_31 Depth=1
	scratch_load_b64 v[22:23], v8, off
	s_waitcnt vmcnt(0)
	v_and_b32_e32 v8, 0xff, v23
	v_and_b32_e32 v24, 0xff00, v23
	v_and_b32_e32 v25, 0xff0000, v23
	v_and_b32_e32 v23, 0xff000000, v23
	v_or3_b32 v22, v22, 0, 0
	s_delay_alu instid0(VALU_DEP_4) | instskip(NEXT) | instid1(VALU_DEP_1)
	v_or_b32_e32 v8, v8, v24
	v_or3_b32 v23, v8, v25, v23
.LBB1_87:                               ;   in Loop: Header=BB1_31 Depth=1
	s_or_b32 exec_lo, exec_lo, s0
	v_readfirstlane_b32 s0, v35
	v_mov_b32_e32 v32, 0
	v_mov_b32_e32 v33, 0
	s_delay_alu instid0(VALU_DEP_3) | instskip(NEXT) | instid1(VALU_DEP_1)
	v_cmp_eq_u32_e64 s0, s0, v35
	s_and_saveexec_b32 s1, s0
	s_cbranch_execz .LBB1_93
; %bb.88:                               ;   in Loop: Header=BB1_31 Depth=1
	global_load_b64 v[26:27], v9, s[2:3] offset:24 glc
	s_waitcnt vmcnt(0)
	buffer_gl1_inv
	buffer_gl0_inv
	s_clause 0x1
	global_load_b64 v[24:25], v9, s[2:3] offset:40
	global_load_b64 v[32:33], v9, s[2:3]
	s_mov_b32 s4, exec_lo
	s_waitcnt vmcnt(1)
	v_and_b32_e32 v8, v25, v27
	v_and_b32_e32 v24, v24, v26
	s_delay_alu instid0(VALU_DEP_2) | instskip(NEXT) | instid1(VALU_DEP_2)
	v_mul_lo_u32 v8, v8, 24
	v_mul_hi_u32 v25, v24, 24
	v_mul_lo_u32 v24, v24, 24
	s_delay_alu instid0(VALU_DEP_2) | instskip(SKIP_1) | instid1(VALU_DEP_2)
	v_add_nc_u32_e32 v8, v25, v8
	s_waitcnt vmcnt(0)
	v_add_co_u32 v24, vcc_lo, v32, v24
	s_delay_alu instid0(VALU_DEP_2)
	v_add_co_ci_u32_e32 v25, vcc_lo, v33, v8, vcc_lo
	global_load_b64 v[24:25], v[24:25], off glc
	s_waitcnt vmcnt(0)
	global_atomic_cmpswap_b64 v[32:33], v9, v[24:27], s[2:3] offset:24 glc
	s_waitcnt vmcnt(0)
	buffer_gl1_inv
	buffer_gl0_inv
	v_cmpx_ne_u64_e64 v[32:33], v[26:27]
	s_cbranch_execz .LBB1_92
; %bb.89:                               ;   in Loop: Header=BB1_31 Depth=1
	s_mov_b32 s5, 0
	.p2align	6
.LBB1_90:                               ;   Parent Loop BB1_31 Depth=1
                                        ; =>  This Inner Loop Header: Depth=2
	s_sleep 1
	s_clause 0x1
	global_load_b64 v[24:25], v9, s[2:3] offset:40
	global_load_b64 v[38:39], v9, s[2:3]
	v_dual_mov_b32 v26, v32 :: v_dual_mov_b32 v27, v33
	s_waitcnt vmcnt(1)
	s_delay_alu instid0(VALU_DEP_1) | instskip(SKIP_1) | instid1(VALU_DEP_1)
	v_and_b32_e32 v8, v24, v26
	s_waitcnt vmcnt(0)
	v_mad_u64_u32 v[32:33], null, v8, 24, v[38:39]
	v_and_b32_e32 v38, v25, v27
	s_delay_alu instid0(VALU_DEP_2) | instskip(NEXT) | instid1(VALU_DEP_1)
	v_mov_b32_e32 v8, v33
	v_mad_u64_u32 v[24:25], null, v38, 24, v[8:9]
	s_delay_alu instid0(VALU_DEP_1)
	v_mov_b32_e32 v33, v24
	global_load_b64 v[24:25], v[32:33], off glc
	s_waitcnt vmcnt(0)
	global_atomic_cmpswap_b64 v[32:33], v9, v[24:27], s[2:3] offset:24 glc
	s_waitcnt vmcnt(0)
	buffer_gl1_inv
	buffer_gl0_inv
	v_cmp_eq_u64_e32 vcc_lo, v[32:33], v[26:27]
	s_or_b32 s5, vcc_lo, s5
	s_delay_alu instid0(SALU_CYCLE_1)
	s_and_not1_b32 exec_lo, exec_lo, s5
	s_cbranch_execnz .LBB1_90
; %bb.91:                               ;   in Loop: Header=BB1_31 Depth=1
	s_or_b32 exec_lo, exec_lo, s5
.LBB1_92:                               ;   in Loop: Header=BB1_31 Depth=1
	s_delay_alu instid0(SALU_CYCLE_1)
	s_or_b32 exec_lo, exec_lo, s4
.LBB1_93:                               ;   in Loop: Header=BB1_31 Depth=1
	s_delay_alu instid0(SALU_CYCLE_1)
	s_or_b32 exec_lo, exec_lo, s1
	s_clause 0x1
	global_load_b64 v[38:39], v9, s[2:3] offset:40
	global_load_b128 v[24:27], v9, s[2:3]
	v_readfirstlane_b32 s4, v32
	v_readfirstlane_b32 s5, v33
	s_mov_b32 s1, exec_lo
	s_waitcnt vmcnt(1)
	v_readfirstlane_b32 s6, v38
	v_readfirstlane_b32 s7, v39
	s_delay_alu instid0(VALU_DEP_1) | instskip(NEXT) | instid1(SALU_CYCLE_1)
	s_and_b64 s[6:7], s[4:5], s[6:7]
	s_mul_i32 s12, s7, 24
	s_mul_hi_u32 s13, s6, 24
	s_mul_i32 s14, s6, 24
	s_add_i32 s13, s13, s12
	s_waitcnt vmcnt(0)
	v_add_co_u32 v32, vcc_lo, v24, s14
	v_add_co_ci_u32_e32 v33, vcc_lo, s13, v25, vcc_lo
	s_and_saveexec_b32 s12, s0
	s_cbranch_execz .LBB1_95
; %bb.94:                               ;   in Loop: Header=BB1_31 Depth=1
	v_mov_b32_e32 v8, s1
	global_store_b128 v[32:33], v[8:11], off offset:8
.LBB1_95:                               ;   in Loop: Header=BB1_31 Depth=1
	s_or_b32 exec_lo, exec_lo, s12
	v_cmp_lt_u64_e32 vcc_lo, 56, v[28:29]
	v_or_b32_e32 v8, 0, v1
	v_or_b32_e32 v38, v0, v36
	v_lshl_add_u32 v39, v30, 2, 28
	s_lshl_b64 s[6:7], s[6:7], 12
	s_delay_alu instid0(SALU_CYCLE_1) | instskip(NEXT) | instid1(VALU_DEP_1)
	v_add_co_u32 v26, s1, v26, s6
	v_add_co_ci_u32_e64 v27, s1, s7, v27, s1
	v_dual_cndmask_b32 v1, v8, v1 :: v_dual_cndmask_b32 v0, v38, v0
	v_and_b32_e32 v8, 0x1e0, v39
	s_delay_alu instid0(VALU_DEP_4) | instskip(NEXT) | instid1(VALU_DEP_4)
	v_readfirstlane_b32 s6, v26
	v_readfirstlane_b32 s7, v27
	s_delay_alu instid0(VALU_DEP_3)
	v_and_or_b32 v0, 0xffffff1f, v0, v8
	s_clause 0x3
	global_store_b128 v34, v[0:3], s[6:7]
	global_store_b128 v34, v[12:15], s[6:7] offset:16
	global_store_b128 v34, v[16:19], s[6:7] offset:32
	;; [unrolled: 1-line block ×3, first 2 shown]
	s_and_saveexec_b32 s1, s0
	s_cbranch_execz .LBB1_103
; %bb.96:                               ;   in Loop: Header=BB1_31 Depth=1
	s_clause 0x1
	global_load_b64 v[16:17], v9, s[2:3] offset:32 glc
	global_load_b64 v[0:1], v9, s[2:3] offset:40
	v_dual_mov_b32 v14, s4 :: v_dual_mov_b32 v15, s5
	s_waitcnt vmcnt(0)
	v_readfirstlane_b32 s6, v0
	v_readfirstlane_b32 s7, v1
	s_delay_alu instid0(VALU_DEP_1) | instskip(NEXT) | instid1(SALU_CYCLE_1)
	s_and_b64 s[6:7], s[6:7], s[4:5]
	s_mul_i32 s7, s7, 24
	s_mul_hi_u32 s12, s6, 24
	s_mul_i32 s6, s6, 24
	s_add_i32 s12, s12, s7
	v_add_co_u32 v12, vcc_lo, v24, s6
	v_add_co_ci_u32_e32 v13, vcc_lo, s12, v25, vcc_lo
	s_mov_b32 s6, exec_lo
	global_store_b64 v[12:13], v[16:17], off
	s_waitcnt_vscnt null, 0x0
	global_atomic_cmpswap_b64 v[2:3], v9, v[14:17], s[2:3] offset:32 glc
	s_waitcnt vmcnt(0)
	v_cmpx_ne_u64_e64 v[2:3], v[16:17]
	s_cbranch_execz .LBB1_99
; %bb.97:                               ;   in Loop: Header=BB1_31 Depth=1
	s_mov_b32 s7, 0
.LBB1_98:                               ;   Parent Loop BB1_31 Depth=1
                                        ; =>  This Inner Loop Header: Depth=2
	v_dual_mov_b32 v0, s4 :: v_dual_mov_b32 v1, s5
	s_sleep 1
	global_store_b64 v[12:13], v[2:3], off
	s_waitcnt_vscnt null, 0x0
	global_atomic_cmpswap_b64 v[0:1], v9, v[0:3], s[2:3] offset:32 glc
	s_waitcnt vmcnt(0)
	v_cmp_eq_u64_e32 vcc_lo, v[0:1], v[2:3]
	v_dual_mov_b32 v3, v1 :: v_dual_mov_b32 v2, v0
	s_or_b32 s7, vcc_lo, s7
	s_delay_alu instid0(SALU_CYCLE_1)
	s_and_not1_b32 exec_lo, exec_lo, s7
	s_cbranch_execnz .LBB1_98
.LBB1_99:                               ;   in Loop: Header=BB1_31 Depth=1
	s_or_b32 exec_lo, exec_lo, s6
	global_load_b64 v[0:1], v9, s[2:3] offset:16
	s_mov_b32 s7, exec_lo
	s_mov_b32 s6, exec_lo
	v_mbcnt_lo_u32_b32 v2, s7, 0
	s_delay_alu instid0(VALU_DEP_1)
	v_cmpx_eq_u32_e32 0, v2
	s_cbranch_execz .LBB1_101
; %bb.100:                              ;   in Loop: Header=BB1_31 Depth=1
	s_bcnt1_i32_b32 s7, s7
	s_delay_alu instid0(SALU_CYCLE_1)
	v_mov_b32_e32 v8, s7
	s_waitcnt vmcnt(0)
	global_atomic_add_u64 v[0:1], v[8:9], off offset:8
.LBB1_101:                              ;   in Loop: Header=BB1_31 Depth=1
	s_or_b32 exec_lo, exec_lo, s6
	s_waitcnt vmcnt(0)
	global_load_b64 v[2:3], v[0:1], off offset:16
	s_waitcnt vmcnt(0)
	v_cmp_eq_u64_e32 vcc_lo, 0, v[2:3]
	s_cbranch_vccnz .LBB1_103
; %bb.102:                              ;   in Loop: Header=BB1_31 Depth=1
	global_load_b32 v8, v[0:1], off offset:24
	s_waitcnt vmcnt(0)
	v_and_b32_e32 v0, 0xffffff, v8
	s_waitcnt_vscnt null, 0x0
	global_store_b64 v[2:3], v[8:9], off
	v_readfirstlane_b32 m0, v0
	s_sendmsg sendmsg(MSG_INTERRUPT)
.LBB1_103:                              ;   in Loop: Header=BB1_31 Depth=1
	s_or_b32 exec_lo, exec_lo, s1
	v_add_co_u32 v0, vcc_lo, v26, v34
	v_add_co_ci_u32_e32 v1, vcc_lo, 0, v27, vcc_lo
	s_branch .LBB1_107
	.p2align	6
.LBB1_104:                              ;   in Loop: Header=BB1_107 Depth=2
	s_or_b32 exec_lo, exec_lo, s1
	s_delay_alu instid0(VALU_DEP_1) | instskip(NEXT) | instid1(VALU_DEP_1)
	v_readfirstlane_b32 s1, v2
	s_cmp_eq_u32 s1, 0
	s_cbranch_scc1 .LBB1_106
; %bb.105:                              ;   in Loop: Header=BB1_107 Depth=2
	s_sleep 1
	s_cbranch_execnz .LBB1_107
	s_branch .LBB1_109
	.p2align	6
.LBB1_106:                              ;   in Loop: Header=BB1_31 Depth=1
	s_branch .LBB1_109
.LBB1_107:                              ;   Parent Loop BB1_31 Depth=1
                                        ; =>  This Inner Loop Header: Depth=2
	v_mov_b32_e32 v2, 1
	s_and_saveexec_b32 s1, s0
	s_cbranch_execz .LBB1_104
; %bb.108:                              ;   in Loop: Header=BB1_107 Depth=2
	global_load_b32 v2, v[32:33], off offset:20 glc
	s_waitcnt vmcnt(0)
	buffer_gl1_inv
	buffer_gl0_inv
	v_and_b32_e32 v2, 1, v2
	s_branch .LBB1_104
.LBB1_109:                              ;   in Loop: Header=BB1_31 Depth=1
	global_load_b128 v[0:3], v[0:1], off
	s_and_saveexec_b32 s1, s0
	s_cbranch_execz .LBB1_30
; %bb.110:                              ;   in Loop: Header=BB1_31 Depth=1
	s_clause 0x2
	global_load_b64 v[2:3], v9, s[2:3] offset:40
	global_load_b64 v[16:17], v9, s[2:3] offset:24 glc
	global_load_b64 v[14:15], v9, s[2:3]
	s_waitcnt vmcnt(2)
	v_add_co_u32 v8, vcc_lo, v2, 1
	v_add_co_ci_u32_e32 v18, vcc_lo, 0, v3, vcc_lo
	s_delay_alu instid0(VALU_DEP_2) | instskip(NEXT) | instid1(VALU_DEP_2)
	v_add_co_u32 v12, vcc_lo, v8, s4
	v_add_co_ci_u32_e32 v13, vcc_lo, s5, v18, vcc_lo
	s_delay_alu instid0(VALU_DEP_1) | instskip(SKIP_1) | instid1(VALU_DEP_1)
	v_cmp_eq_u64_e32 vcc_lo, 0, v[12:13]
	v_dual_cndmask_b32 v13, v13, v18 :: v_dual_cndmask_b32 v12, v12, v8
	v_and_b32_e32 v3, v13, v3
	s_delay_alu instid0(VALU_DEP_2) | instskip(NEXT) | instid1(VALU_DEP_1)
	v_and_b32_e32 v2, v12, v2
	v_mul_hi_u32 v8, v2, 24
	v_mul_lo_u32 v2, v2, 24
	s_waitcnt vmcnt(0)
	s_delay_alu instid0(VALU_DEP_1) | instskip(SKIP_2) | instid1(VALU_DEP_1)
	v_add_co_u32 v2, vcc_lo, v14, v2
	v_mov_b32_e32 v14, v16
	v_mul_lo_u32 v3, v3, 24
	v_add_nc_u32_e32 v3, v8, v3
	s_delay_alu instid0(VALU_DEP_1)
	v_add_co_ci_u32_e32 v3, vcc_lo, v15, v3, vcc_lo
	v_mov_b32_e32 v15, v17
	global_store_b64 v[2:3], v[16:17], off
	s_waitcnt_vscnt null, 0x0
	global_atomic_cmpswap_b64 v[14:15], v9, v[12:15], s[2:3] offset:24 glc
	s_waitcnt vmcnt(0)
	v_cmp_ne_u64_e32 vcc_lo, v[14:15], v[16:17]
	s_and_b32 exec_lo, exec_lo, vcc_lo
	s_cbranch_execz .LBB1_30
; %bb.111:                              ;   in Loop: Header=BB1_31 Depth=1
	s_mov_b32 s0, 0
.LBB1_112:                              ;   Parent Loop BB1_31 Depth=1
                                        ; =>  This Inner Loop Header: Depth=2
	s_sleep 1
	global_store_b64 v[2:3], v[14:15], off
	s_waitcnt_vscnt null, 0x0
	global_atomic_cmpswap_b64 v[16:17], v9, v[12:15], s[2:3] offset:24 glc
	s_waitcnt vmcnt(0)
	v_cmp_eq_u64_e32 vcc_lo, v[16:17], v[14:15]
	v_dual_mov_b32 v14, v16 :: v_dual_mov_b32 v15, v17
	s_or_b32 s0, vcc_lo, s0
	s_delay_alu instid0(SALU_CYCLE_1)
	s_and_not1_b32 exec_lo, exec_lo, s0
	s_cbranch_execnz .LBB1_112
	s_branch .LBB1_30
.LBB1_113:
                                        ; implicit-def: $vgpr0_vgpr1
	s_cbranch_execnz .LBB1_115
	s_branch .LBB1_142
.LBB1_114:
	s_or_b32 exec_lo, exec_lo, s10
	s_branch .LBB1_142
.LBB1_115:
	v_readfirstlane_b32 s0, v35
	v_mov_b32_e32 v9, 0
	v_mov_b32_e32 v10, 0
	s_delay_alu instid0(VALU_DEP_3) | instskip(NEXT) | instid1(VALU_DEP_1)
	v_cmp_eq_u32_e64 s0, s0, v35
	s_and_saveexec_b32 s1, s0
	s_cbranch_execz .LBB1_121
; %bb.116:
	s_waitcnt vmcnt(0)
	v_mov_b32_e32 v0, 0
	s_mov_b32 s4, exec_lo
	global_load_b64 v[11:12], v0, s[2:3] offset:24 glc
	s_waitcnt vmcnt(0)
	buffer_gl1_inv
	buffer_gl0_inv
	s_clause 0x1
	global_load_b64 v[1:2], v0, s[2:3] offset:40
	global_load_b64 v[8:9], v0, s[2:3]
	s_waitcnt vmcnt(1)
	v_and_b32_e32 v1, v1, v11
	v_and_b32_e32 v2, v2, v12
	s_delay_alu instid0(VALU_DEP_2) | instskip(NEXT) | instid1(VALU_DEP_2)
	v_mul_hi_u32 v3, v1, 24
	v_mul_lo_u32 v2, v2, 24
	v_mul_lo_u32 v1, v1, 24
	s_delay_alu instid0(VALU_DEP_2) | instskip(SKIP_1) | instid1(VALU_DEP_2)
	v_add_nc_u32_e32 v2, v3, v2
	s_waitcnt vmcnt(0)
	v_add_co_u32 v1, vcc_lo, v8, v1
	s_delay_alu instid0(VALU_DEP_2)
	v_add_co_ci_u32_e32 v2, vcc_lo, v9, v2, vcc_lo
	global_load_b64 v[9:10], v[1:2], off glc
	s_waitcnt vmcnt(0)
	global_atomic_cmpswap_b64 v[9:10], v0, v[9:12], s[2:3] offset:24 glc
	s_waitcnt vmcnt(0)
	buffer_gl1_inv
	buffer_gl0_inv
	v_cmpx_ne_u64_e64 v[9:10], v[11:12]
	s_cbranch_execz .LBB1_120
; %bb.117:
	s_mov_b32 s5, 0
	.p2align	6
.LBB1_118:                              ; =>This Inner Loop Header: Depth=1
	s_sleep 1
	s_clause 0x1
	global_load_b64 v[1:2], v0, s[2:3] offset:40
	global_load_b64 v[13:14], v0, s[2:3]
	v_dual_mov_b32 v12, v10 :: v_dual_mov_b32 v11, v9
	s_waitcnt vmcnt(1)
	s_delay_alu instid0(VALU_DEP_1) | instskip(SKIP_1) | instid1(VALU_DEP_1)
	v_and_b32_e32 v1, v1, v11
	s_waitcnt vmcnt(0)
	v_mad_u64_u32 v[8:9], null, v1, 24, v[13:14]
	s_delay_alu instid0(VALU_DEP_1) | instskip(NEXT) | instid1(VALU_DEP_1)
	v_dual_mov_b32 v1, v9 :: v_dual_and_b32 v10, v2, v12
	v_mad_u64_u32 v[2:3], null, v10, 24, v[1:2]
	s_delay_alu instid0(VALU_DEP_1)
	v_mov_b32_e32 v9, v2
	global_load_b64 v[9:10], v[8:9], off glc
	s_waitcnt vmcnt(0)
	global_atomic_cmpswap_b64 v[9:10], v0, v[9:12], s[2:3] offset:24 glc
	s_waitcnt vmcnt(0)
	buffer_gl1_inv
	buffer_gl0_inv
	v_cmp_eq_u64_e32 vcc_lo, v[9:10], v[11:12]
	s_or_b32 s5, vcc_lo, s5
	s_delay_alu instid0(SALU_CYCLE_1)
	s_and_not1_b32 exec_lo, exec_lo, s5
	s_cbranch_execnz .LBB1_118
; %bb.119:
	s_or_b32 exec_lo, exec_lo, s5
.LBB1_120:
	s_delay_alu instid0(SALU_CYCLE_1)
	s_or_b32 exec_lo, exec_lo, s4
.LBB1_121:
	s_delay_alu instid0(SALU_CYCLE_1)
	s_or_b32 exec_lo, exec_lo, s1
	v_mov_b32_e32 v8, 0
	v_readfirstlane_b32 s4, v9
	v_readfirstlane_b32 s5, v10
	s_mov_b32 s1, exec_lo
	s_clause 0x1
	global_load_b64 v[11:12], v8, s[2:3] offset:40
	global_load_b128 v[0:3], v8, s[2:3]
	s_waitcnt vmcnt(1)
	v_readfirstlane_b32 s6, v11
	v_readfirstlane_b32 s7, v12
	s_delay_alu instid0(VALU_DEP_1) | instskip(NEXT) | instid1(SALU_CYCLE_1)
	s_and_b64 s[6:7], s[4:5], s[6:7]
	s_mul_i32 s10, s7, 24
	s_mul_hi_u32 s11, s6, 24
	s_mul_i32 s12, s6, 24
	s_add_i32 s11, s11, s10
	s_waitcnt vmcnt(0)
	v_add_co_u32 v10, vcc_lo, v0, s12
	v_add_co_ci_u32_e32 v11, vcc_lo, s11, v1, vcc_lo
	s_and_saveexec_b32 s10, s0
	s_cbranch_execz .LBB1_123
; %bb.122:
	v_dual_mov_b32 v12, s1 :: v_dual_mov_b32 v13, v8
	v_dual_mov_b32 v14, 2 :: v_dual_mov_b32 v15, 1
	global_store_b128 v[10:11], v[12:15], off offset:8
.LBB1_123:
	s_or_b32 exec_lo, exec_lo, s10
	s_lshl_b64 s[6:7], s[6:7], 12
	s_mov_b32 s12, 0
	v_add_co_u32 v2, vcc_lo, v2, s6
	v_add_co_ci_u32_e32 v3, vcc_lo, s7, v3, vcc_lo
	s_mov_b32 s15, s12
	s_delay_alu instid0(VALU_DEP_2)
	v_add_co_u32 v12, vcc_lo, v2, v34
	s_mov_b32 s13, s12
	s_mov_b32 s14, s12
	v_and_or_b32 v6, 0xffffff1f, v6, 32
	v_mov_b32_e32 v9, v8
	v_readfirstlane_b32 s6, v2
	v_readfirstlane_b32 s7, v3
	v_dual_mov_b32 v17, s15 :: v_dual_mov_b32 v14, s12
	v_add_co_ci_u32_e32 v13, vcc_lo, 0, v3, vcc_lo
	v_dual_mov_b32 v16, s14 :: v_dual_mov_b32 v15, s13
	s_clause 0x3
	global_store_b128 v34, v[6:9], s[6:7]
	global_store_b128 v34, v[14:17], s[6:7] offset:16
	global_store_b128 v34, v[14:17], s[6:7] offset:32
	;; [unrolled: 1-line block ×3, first 2 shown]
	s_and_saveexec_b32 s1, s0
	s_cbranch_execz .LBB1_131
; %bb.124:
	v_dual_mov_b32 v8, 0 :: v_dual_mov_b32 v15, s5
	v_mov_b32_e32 v14, s4
	s_clause 0x1
	global_load_b64 v[16:17], v8, s[2:3] offset:32 glc
	global_load_b64 v[2:3], v8, s[2:3] offset:40
	s_waitcnt vmcnt(0)
	v_readfirstlane_b32 s6, v2
	v_readfirstlane_b32 s7, v3
	s_delay_alu instid0(VALU_DEP_1) | instskip(NEXT) | instid1(SALU_CYCLE_1)
	s_and_b64 s[6:7], s[6:7], s[4:5]
	s_mul_i32 s7, s7, 24
	s_mul_hi_u32 s10, s6, 24
	s_mul_i32 s6, s6, 24
	s_add_i32 s10, s10, s7
	v_add_co_u32 v6, vcc_lo, v0, s6
	v_add_co_ci_u32_e32 v7, vcc_lo, s10, v1, vcc_lo
	s_mov_b32 s6, exec_lo
	global_store_b64 v[6:7], v[16:17], off
	s_waitcnt_vscnt null, 0x0
	global_atomic_cmpswap_b64 v[2:3], v8, v[14:17], s[2:3] offset:32 glc
	s_waitcnt vmcnt(0)
	v_cmpx_ne_u64_e64 v[2:3], v[16:17]
	s_cbranch_execz .LBB1_127
; %bb.125:
	s_mov_b32 s7, 0
.LBB1_126:                              ; =>This Inner Loop Header: Depth=1
	v_dual_mov_b32 v0, s4 :: v_dual_mov_b32 v1, s5
	s_sleep 1
	global_store_b64 v[6:7], v[2:3], off
	s_waitcnt_vscnt null, 0x0
	global_atomic_cmpswap_b64 v[0:1], v8, v[0:3], s[2:3] offset:32 glc
	s_waitcnt vmcnt(0)
	v_cmp_eq_u64_e32 vcc_lo, v[0:1], v[2:3]
	v_dual_mov_b32 v3, v1 :: v_dual_mov_b32 v2, v0
	s_or_b32 s7, vcc_lo, s7
	s_delay_alu instid0(SALU_CYCLE_1)
	s_and_not1_b32 exec_lo, exec_lo, s7
	s_cbranch_execnz .LBB1_126
.LBB1_127:
	s_or_b32 exec_lo, exec_lo, s6
	v_mov_b32_e32 v3, 0
	s_mov_b32 s7, exec_lo
	s_mov_b32 s6, exec_lo
	v_mbcnt_lo_u32_b32 v2, s7, 0
	global_load_b64 v[0:1], v3, s[2:3] offset:16
	v_cmpx_eq_u32_e32 0, v2
	s_cbranch_execz .LBB1_129
; %bb.128:
	s_bcnt1_i32_b32 s7, s7
	s_delay_alu instid0(SALU_CYCLE_1)
	v_mov_b32_e32 v2, s7
	s_waitcnt vmcnt(0)
	global_atomic_add_u64 v[0:1], v[2:3], off offset:8
.LBB1_129:
	s_or_b32 exec_lo, exec_lo, s6
	s_waitcnt vmcnt(0)
	global_load_b64 v[2:3], v[0:1], off offset:16
	s_waitcnt vmcnt(0)
	v_cmp_eq_u64_e32 vcc_lo, 0, v[2:3]
	s_cbranch_vccnz .LBB1_131
; %bb.130:
	global_load_b32 v0, v[0:1], off offset:24
	s_waitcnt vmcnt(0)
	v_dual_mov_b32 v1, 0 :: v_dual_and_b32 v6, 0xffffff, v0
	s_waitcnt_vscnt null, 0x0
	global_store_b64 v[2:3], v[0:1], off
	v_readfirstlane_b32 m0, v6
	s_sendmsg sendmsg(MSG_INTERRUPT)
.LBB1_131:
	s_or_b32 exec_lo, exec_lo, s1
	s_branch .LBB1_135
	.p2align	6
.LBB1_132:                              ;   in Loop: Header=BB1_135 Depth=1
	s_or_b32 exec_lo, exec_lo, s1
	s_delay_alu instid0(VALU_DEP_1) | instskip(NEXT) | instid1(VALU_DEP_1)
	v_readfirstlane_b32 s1, v0
	s_cmp_eq_u32 s1, 0
	s_cbranch_scc1 .LBB1_134
; %bb.133:                              ;   in Loop: Header=BB1_135 Depth=1
	s_sleep 1
	s_cbranch_execnz .LBB1_135
	s_branch .LBB1_137
	.p2align	6
.LBB1_134:
	s_branch .LBB1_137
.LBB1_135:                              ; =>This Inner Loop Header: Depth=1
	v_mov_b32_e32 v0, 1
	s_and_saveexec_b32 s1, s0
	s_cbranch_execz .LBB1_132
; %bb.136:                              ;   in Loop: Header=BB1_135 Depth=1
	global_load_b32 v0, v[10:11], off offset:20 glc
	s_waitcnt vmcnt(0)
	buffer_gl1_inv
	buffer_gl0_inv
	v_and_b32_e32 v0, 1, v0
	s_branch .LBB1_132
.LBB1_137:
	global_load_b64 v[0:1], v[12:13], off
	s_and_saveexec_b32 s1, s0
	s_cbranch_execz .LBB1_141
; %bb.138:
	v_mov_b32_e32 v10, 0
	s_clause 0x2
	global_load_b64 v[2:3], v10, s[2:3] offset:40
	global_load_b64 v[11:12], v10, s[2:3] offset:24 glc
	global_load_b64 v[8:9], v10, s[2:3]
	s_waitcnt vmcnt(2)
	v_add_co_u32 v13, vcc_lo, v2, 1
	v_add_co_ci_u32_e32 v14, vcc_lo, 0, v3, vcc_lo
	s_delay_alu instid0(VALU_DEP_2) | instskip(NEXT) | instid1(VALU_DEP_2)
	v_add_co_u32 v6, vcc_lo, v13, s4
	v_add_co_ci_u32_e32 v7, vcc_lo, s5, v14, vcc_lo
	s_delay_alu instid0(VALU_DEP_1) | instskip(SKIP_1) | instid1(VALU_DEP_1)
	v_cmp_eq_u64_e32 vcc_lo, 0, v[6:7]
	v_dual_cndmask_b32 v7, v7, v14 :: v_dual_cndmask_b32 v6, v6, v13
	v_and_b32_e32 v3, v7, v3
	s_delay_alu instid0(VALU_DEP_2) | instskip(NEXT) | instid1(VALU_DEP_2)
	v_and_b32_e32 v2, v6, v2
	v_mul_lo_u32 v3, v3, 24
	s_delay_alu instid0(VALU_DEP_2) | instskip(SKIP_1) | instid1(VALU_DEP_2)
	v_mul_hi_u32 v13, v2, 24
	v_mul_lo_u32 v2, v2, 24
	v_add_nc_u32_e32 v3, v13, v3
	s_waitcnt vmcnt(0)
	s_delay_alu instid0(VALU_DEP_2) | instskip(SKIP_1) | instid1(VALU_DEP_3)
	v_add_co_u32 v2, vcc_lo, v8, v2
	v_mov_b32_e32 v8, v11
	v_add_co_ci_u32_e32 v3, vcc_lo, v9, v3, vcc_lo
	v_mov_b32_e32 v9, v12
	global_store_b64 v[2:3], v[11:12], off
	s_waitcnt_vscnt null, 0x0
	global_atomic_cmpswap_b64 v[8:9], v10, v[6:9], s[2:3] offset:24 glc
	s_waitcnt vmcnt(0)
	v_cmp_ne_u64_e32 vcc_lo, v[8:9], v[11:12]
	s_and_b32 exec_lo, exec_lo, vcc_lo
	s_cbranch_execz .LBB1_141
; %bb.139:
	s_mov_b32 s0, 0
.LBB1_140:                              ; =>This Inner Loop Header: Depth=1
	s_sleep 1
	global_store_b64 v[2:3], v[8:9], off
	s_waitcnt_vscnt null, 0x0
	global_atomic_cmpswap_b64 v[11:12], v10, v[6:9], s[2:3] offset:24 glc
	s_waitcnt vmcnt(0)
	v_cmp_eq_u64_e32 vcc_lo, v[11:12], v[8:9]
	v_dual_mov_b32 v8, v11 :: v_dual_mov_b32 v9, v12
	s_or_b32 s0, vcc_lo, s0
	s_delay_alu instid0(SALU_CYCLE_1)
	s_and_not1_b32 exec_lo, exec_lo, s0
	s_cbranch_execnz .LBB1_140
.LBB1_141:
	s_or_b32 exec_lo, exec_lo, s1
.LBB1_142:
	s_getpc_b64 s[4:5]
	s_add_u32 s4, s4, .str.2@rel32@lo+4
	s_addc_u32 s5, s5, .str.2@rel32@hi+12
	s_delay_alu instid0(SALU_CYCLE_1)
	s_cmp_lg_u64 s[4:5], 0
	s_cbranch_scc0 .LBB1_220
; %bb.143:
	s_getpc_b64 s[0:1]
	s_add_u32 s0, s0, .str.2@rel32@lo+80
	s_addc_u32 s1, s1, .str.2@rel32@hi+88
	s_waitcnt vmcnt(0)
	v_dual_mov_b32 v10, 0 :: v_dual_and_b32 v33, 2, v0
	v_dual_mov_b32 v7, v1 :: v_dual_and_b32 v6, -3, v0
	v_dual_mov_b32 v11, 2 :: v_dual_mov_b32 v12, 1
	s_sub_i32 s6, s0, s4
	s_delay_alu instid0(SALU_CYCLE_1)
	s_ashr_i32 s7, s6, 31
	s_branch .LBB1_145
.LBB1_144:                              ;   in Loop: Header=BB1_145 Depth=1
	s_or_b32 exec_lo, exec_lo, s1
	s_sub_u32 s6, s6, s10
	s_subb_u32 s7, s7, s11
	s_add_u32 s4, s4, s10
	s_addc_u32 s5, s5, s11
	s_cmp_lg_u64 s[6:7], 0
	s_cbranch_scc0 .LBB1_221
.LBB1_145:                              ; =>This Loop Header: Depth=1
                                        ;     Child Loop BB1_154 Depth 2
                                        ;     Child Loop BB1_150 Depth 2
                                        ;     Child Loop BB1_162 Depth 2
                                        ;     Child Loop BB1_169 Depth 2
                                        ;     Child Loop BB1_176 Depth 2
                                        ;     Child Loop BB1_183 Depth 2
                                        ;     Child Loop BB1_190 Depth 2
                                        ;     Child Loop BB1_197 Depth 2
                                        ;     Child Loop BB1_205 Depth 2
                                        ;     Child Loop BB1_214 Depth 2
                                        ;     Child Loop BB1_219 Depth 2
	v_cmp_lt_u64_e64 s0, s[6:7], 56
	v_cmp_gt_u64_e64 s1, s[6:7], 7
                                        ; implicit-def: $vgpr15_vgpr16
                                        ; implicit-def: $sgpr16
	s_delay_alu instid0(VALU_DEP_2) | instskip(SKIP_2) | instid1(VALU_DEP_1)
	s_and_b32 s0, s0, exec_lo
	s_cselect_b32 s11, s7, 0
	s_cselect_b32 s10, s6, 56
	s_and_b32 vcc_lo, exec_lo, s1
	s_mov_b32 s0, -1
	s_cbranch_vccz .LBB1_152
; %bb.146:                              ;   in Loop: Header=BB1_145 Depth=1
	s_and_not1_b32 vcc_lo, exec_lo, s0
	s_mov_b64 s[0:1], s[4:5]
	s_cbranch_vccz .LBB1_156
.LBB1_147:                              ;   in Loop: Header=BB1_145 Depth=1
	s_cmp_gt_u32 s16, 7
	s_cbranch_scc1 .LBB1_157
.LBB1_148:                              ;   in Loop: Header=BB1_145 Depth=1
	v_mov_b32_e32 v17, 0
	v_mov_b32_e32 v18, 0
	s_cmp_eq_u32 s16, 0
	s_cbranch_scc1 .LBB1_151
; %bb.149:                              ;   in Loop: Header=BB1_145 Depth=1
	s_mov_b64 s[12:13], 0
	s_mov_b64 s[14:15], 0
.LBB1_150:                              ;   Parent Loop BB1_145 Depth=1
                                        ; =>  This Inner Loop Header: Depth=2
	s_delay_alu instid0(SALU_CYCLE_1)
	s_add_u32 s18, s0, s14
	s_addc_u32 s19, s1, s15
	s_add_u32 s14, s14, 1
	global_load_u8 v2, v10, s[18:19]
	s_addc_u32 s15, s15, 0
	s_waitcnt vmcnt(0)
	v_and_b32_e32 v9, 0xffff, v2
	s_delay_alu instid0(VALU_DEP_1) | instskip(SKIP_3) | instid1(VALU_DEP_1)
	v_lshlrev_b64 v[2:3], s12, v[9:10]
	s_add_u32 s12, s12, 8
	s_addc_u32 s13, s13, 0
	s_cmp_lg_u32 s16, s14
	v_or_b32_e32 v17, v2, v17
	s_delay_alu instid0(VALU_DEP_2)
	v_or_b32_e32 v18, v3, v18
	s_cbranch_scc1 .LBB1_150
.LBB1_151:                              ;   in Loop: Header=BB1_145 Depth=1
	s_mov_b32 s17, 0
	s_cbranch_execz .LBB1_158
	s_branch .LBB1_159
.LBB1_152:                              ;   in Loop: Header=BB1_145 Depth=1
	v_mov_b32_e32 v15, 0
	v_mov_b32_e32 v16, 0
	s_cmp_eq_u64 s[6:7], 0
	s_mov_b64 s[0:1], 0
	s_cbranch_scc1 .LBB1_155
; %bb.153:                              ;   in Loop: Header=BB1_145 Depth=1
	v_mov_b32_e32 v15, 0
	v_mov_b32_e32 v16, 0
	s_lshl_b64 s[12:13], s[10:11], 3
	s_mov_b64 s[14:15], s[4:5]
.LBB1_154:                              ;   Parent Loop BB1_145 Depth=1
                                        ; =>  This Inner Loop Header: Depth=2
	global_load_u8 v2, v10, s[14:15]
	s_waitcnt vmcnt(0)
	v_and_b32_e32 v9, 0xffff, v2
	s_delay_alu instid0(VALU_DEP_1)
	v_lshlrev_b64 v[2:3], s0, v[9:10]
	s_add_u32 s0, s0, 8
	s_addc_u32 s1, s1, 0
	s_add_u32 s14, s14, 1
	s_addc_u32 s15, s15, 0
	s_cmp_lg_u32 s12, s0
	v_or_b32_e32 v15, v2, v15
	v_or_b32_e32 v16, v3, v16
	s_cbranch_scc1 .LBB1_154
.LBB1_155:                              ;   in Loop: Header=BB1_145 Depth=1
	s_mov_b32 s16, 0
	s_mov_b64 s[0:1], s[4:5]
	s_cbranch_execnz .LBB1_147
.LBB1_156:                              ;   in Loop: Header=BB1_145 Depth=1
	global_load_b64 v[15:16], v10, s[4:5]
	s_add_i32 s16, s10, -8
	s_add_u32 s0, s4, 8
	s_addc_u32 s1, s5, 0
	s_cmp_gt_u32 s16, 7
	s_cbranch_scc0 .LBB1_148
.LBB1_157:                              ;   in Loop: Header=BB1_145 Depth=1
                                        ; implicit-def: $vgpr17_vgpr18
                                        ; implicit-def: $sgpr17
.LBB1_158:                              ;   in Loop: Header=BB1_145 Depth=1
	global_load_b64 v[17:18], v10, s[0:1]
	s_add_i32 s17, s16, -8
	s_add_u32 s0, s0, 8
	s_addc_u32 s1, s1, 0
.LBB1_159:                              ;   in Loop: Header=BB1_145 Depth=1
	s_cmp_gt_u32 s17, 7
	s_cbranch_scc1 .LBB1_164
; %bb.160:                              ;   in Loop: Header=BB1_145 Depth=1
	v_mov_b32_e32 v19, 0
	v_mov_b32_e32 v20, 0
	s_cmp_eq_u32 s17, 0
	s_cbranch_scc1 .LBB1_163
; %bb.161:                              ;   in Loop: Header=BB1_145 Depth=1
	s_mov_b64 s[12:13], 0
	s_mov_b64 s[14:15], 0
.LBB1_162:                              ;   Parent Loop BB1_145 Depth=1
                                        ; =>  This Inner Loop Header: Depth=2
	s_delay_alu instid0(SALU_CYCLE_1)
	s_add_u32 s18, s0, s14
	s_addc_u32 s19, s1, s15
	s_add_u32 s14, s14, 1
	global_load_u8 v2, v10, s[18:19]
	s_addc_u32 s15, s15, 0
	s_waitcnt vmcnt(0)
	v_and_b32_e32 v9, 0xffff, v2
	s_delay_alu instid0(VALU_DEP_1) | instskip(SKIP_3) | instid1(VALU_DEP_1)
	v_lshlrev_b64 v[2:3], s12, v[9:10]
	s_add_u32 s12, s12, 8
	s_addc_u32 s13, s13, 0
	s_cmp_lg_u32 s17, s14
	v_or_b32_e32 v19, v2, v19
	s_delay_alu instid0(VALU_DEP_2)
	v_or_b32_e32 v20, v3, v20
	s_cbranch_scc1 .LBB1_162
.LBB1_163:                              ;   in Loop: Header=BB1_145 Depth=1
	s_mov_b32 s16, 0
	s_cbranch_execz .LBB1_165
	s_branch .LBB1_166
.LBB1_164:                              ;   in Loop: Header=BB1_145 Depth=1
                                        ; implicit-def: $sgpr16
.LBB1_165:                              ;   in Loop: Header=BB1_145 Depth=1
	global_load_b64 v[19:20], v10, s[0:1]
	s_add_i32 s16, s17, -8
	s_add_u32 s0, s0, 8
	s_addc_u32 s1, s1, 0
.LBB1_166:                              ;   in Loop: Header=BB1_145 Depth=1
	s_cmp_gt_u32 s16, 7
	s_cbranch_scc1 .LBB1_171
; %bb.167:                              ;   in Loop: Header=BB1_145 Depth=1
	v_mov_b32_e32 v21, 0
	v_mov_b32_e32 v22, 0
	s_cmp_eq_u32 s16, 0
	s_cbranch_scc1 .LBB1_170
; %bb.168:                              ;   in Loop: Header=BB1_145 Depth=1
	s_mov_b64 s[12:13], 0
	s_mov_b64 s[14:15], 0
.LBB1_169:                              ;   Parent Loop BB1_145 Depth=1
                                        ; =>  This Inner Loop Header: Depth=2
	s_delay_alu instid0(SALU_CYCLE_1)
	s_add_u32 s18, s0, s14
	s_addc_u32 s19, s1, s15
	s_add_u32 s14, s14, 1
	global_load_u8 v2, v10, s[18:19]
	s_addc_u32 s15, s15, 0
	s_waitcnt vmcnt(0)
	v_and_b32_e32 v9, 0xffff, v2
	s_delay_alu instid0(VALU_DEP_1) | instskip(SKIP_3) | instid1(VALU_DEP_1)
	v_lshlrev_b64 v[2:3], s12, v[9:10]
	s_add_u32 s12, s12, 8
	s_addc_u32 s13, s13, 0
	s_cmp_lg_u32 s16, s14
	v_or_b32_e32 v21, v2, v21
	s_delay_alu instid0(VALU_DEP_2)
	v_or_b32_e32 v22, v3, v22
	s_cbranch_scc1 .LBB1_169
.LBB1_170:                              ;   in Loop: Header=BB1_145 Depth=1
	s_mov_b32 s17, 0
	s_cbranch_execz .LBB1_172
	s_branch .LBB1_173
.LBB1_171:                              ;   in Loop: Header=BB1_145 Depth=1
                                        ; implicit-def: $vgpr21_vgpr22
                                        ; implicit-def: $sgpr17
.LBB1_172:                              ;   in Loop: Header=BB1_145 Depth=1
	global_load_b64 v[21:22], v10, s[0:1]
	s_add_i32 s17, s16, -8
	s_add_u32 s0, s0, 8
	s_addc_u32 s1, s1, 0
.LBB1_173:                              ;   in Loop: Header=BB1_145 Depth=1
	s_cmp_gt_u32 s17, 7
	s_cbranch_scc1 .LBB1_178
; %bb.174:                              ;   in Loop: Header=BB1_145 Depth=1
	v_mov_b32_e32 v23, 0
	v_mov_b32_e32 v24, 0
	s_cmp_eq_u32 s17, 0
	s_cbranch_scc1 .LBB1_177
; %bb.175:                              ;   in Loop: Header=BB1_145 Depth=1
	s_mov_b64 s[12:13], 0
	s_mov_b64 s[14:15], 0
.LBB1_176:                              ;   Parent Loop BB1_145 Depth=1
                                        ; =>  This Inner Loop Header: Depth=2
	s_delay_alu instid0(SALU_CYCLE_1)
	s_add_u32 s18, s0, s14
	s_addc_u32 s19, s1, s15
	s_add_u32 s14, s14, 1
	global_load_u8 v2, v10, s[18:19]
	s_addc_u32 s15, s15, 0
	s_waitcnt vmcnt(0)
	v_and_b32_e32 v9, 0xffff, v2
	s_delay_alu instid0(VALU_DEP_1) | instskip(SKIP_3) | instid1(VALU_DEP_1)
	v_lshlrev_b64 v[2:3], s12, v[9:10]
	s_add_u32 s12, s12, 8
	s_addc_u32 s13, s13, 0
	s_cmp_lg_u32 s17, s14
	v_or_b32_e32 v23, v2, v23
	s_delay_alu instid0(VALU_DEP_2)
	v_or_b32_e32 v24, v3, v24
	s_cbranch_scc1 .LBB1_176
.LBB1_177:                              ;   in Loop: Header=BB1_145 Depth=1
	s_mov_b32 s16, 0
	s_cbranch_execz .LBB1_179
	s_branch .LBB1_180
.LBB1_178:                              ;   in Loop: Header=BB1_145 Depth=1
                                        ; implicit-def: $sgpr16
.LBB1_179:                              ;   in Loop: Header=BB1_145 Depth=1
	global_load_b64 v[23:24], v10, s[0:1]
	s_add_i32 s16, s17, -8
	s_add_u32 s0, s0, 8
	s_addc_u32 s1, s1, 0
.LBB1_180:                              ;   in Loop: Header=BB1_145 Depth=1
	s_cmp_gt_u32 s16, 7
	s_cbranch_scc1 .LBB1_185
; %bb.181:                              ;   in Loop: Header=BB1_145 Depth=1
	v_mov_b32_e32 v25, 0
	v_mov_b32_e32 v26, 0
	s_cmp_eq_u32 s16, 0
	s_cbranch_scc1 .LBB1_184
; %bb.182:                              ;   in Loop: Header=BB1_145 Depth=1
	s_mov_b64 s[12:13], 0
	s_mov_b64 s[14:15], 0
.LBB1_183:                              ;   Parent Loop BB1_145 Depth=1
                                        ; =>  This Inner Loop Header: Depth=2
	s_delay_alu instid0(SALU_CYCLE_1)
	s_add_u32 s18, s0, s14
	s_addc_u32 s19, s1, s15
	s_add_u32 s14, s14, 1
	global_load_u8 v2, v10, s[18:19]
	s_addc_u32 s15, s15, 0
	s_waitcnt vmcnt(0)
	v_and_b32_e32 v9, 0xffff, v2
	s_delay_alu instid0(VALU_DEP_1) | instskip(SKIP_3) | instid1(VALU_DEP_1)
	v_lshlrev_b64 v[2:3], s12, v[9:10]
	s_add_u32 s12, s12, 8
	s_addc_u32 s13, s13, 0
	s_cmp_lg_u32 s16, s14
	v_or_b32_e32 v25, v2, v25
	s_delay_alu instid0(VALU_DEP_2)
	v_or_b32_e32 v26, v3, v26
	s_cbranch_scc1 .LBB1_183
.LBB1_184:                              ;   in Loop: Header=BB1_145 Depth=1
	s_mov_b32 s17, 0
	s_cbranch_execz .LBB1_186
	s_branch .LBB1_187
.LBB1_185:                              ;   in Loop: Header=BB1_145 Depth=1
                                        ; implicit-def: $vgpr25_vgpr26
                                        ; implicit-def: $sgpr17
.LBB1_186:                              ;   in Loop: Header=BB1_145 Depth=1
	global_load_b64 v[25:26], v10, s[0:1]
	s_add_i32 s17, s16, -8
	s_add_u32 s0, s0, 8
	s_addc_u32 s1, s1, 0
.LBB1_187:                              ;   in Loop: Header=BB1_145 Depth=1
	s_cmp_gt_u32 s17, 7
	s_cbranch_scc1 .LBB1_192
; %bb.188:                              ;   in Loop: Header=BB1_145 Depth=1
	v_mov_b32_e32 v27, 0
	v_mov_b32_e32 v28, 0
	s_cmp_eq_u32 s17, 0
	s_cbranch_scc1 .LBB1_191
; %bb.189:                              ;   in Loop: Header=BB1_145 Depth=1
	s_mov_b64 s[12:13], 0
	s_mov_b64 s[14:15], s[0:1]
.LBB1_190:                              ;   Parent Loop BB1_145 Depth=1
                                        ; =>  This Inner Loop Header: Depth=2
	global_load_u8 v2, v10, s[14:15]
	s_add_i32 s17, s17, -1
	s_waitcnt vmcnt(0)
	v_and_b32_e32 v9, 0xffff, v2
	s_delay_alu instid0(VALU_DEP_1)
	v_lshlrev_b64 v[2:3], s12, v[9:10]
	s_add_u32 s12, s12, 8
	s_addc_u32 s13, s13, 0
	s_add_u32 s14, s14, 1
	s_addc_u32 s15, s15, 0
	s_cmp_lg_u32 s17, 0
	v_or_b32_e32 v27, v2, v27
	v_or_b32_e32 v28, v3, v28
	s_cbranch_scc1 .LBB1_190
.LBB1_191:                              ;   in Loop: Header=BB1_145 Depth=1
	s_cbranch_execz .LBB1_193
	s_branch .LBB1_194
.LBB1_192:                              ;   in Loop: Header=BB1_145 Depth=1
.LBB1_193:                              ;   in Loop: Header=BB1_145 Depth=1
	global_load_b64 v[27:28], v10, s[0:1]
.LBB1_194:                              ;   in Loop: Header=BB1_145 Depth=1
	v_readfirstlane_b32 s0, v35
	v_mov_b32_e32 v2, 0
	v_mov_b32_e32 v3, 0
	s_delay_alu instid0(VALU_DEP_3) | instskip(NEXT) | instid1(VALU_DEP_1)
	v_cmp_eq_u32_e64 s0, s0, v35
	s_and_saveexec_b32 s1, s0
	s_cbranch_execz .LBB1_200
; %bb.195:                              ;   in Loop: Header=BB1_145 Depth=1
	global_load_b64 v[31:32], v10, s[2:3] offset:24 glc
	s_waitcnt vmcnt(0)
	buffer_gl1_inv
	buffer_gl0_inv
	s_clause 0x1
	global_load_b64 v[2:3], v10, s[2:3] offset:40
	global_load_b64 v[8:9], v10, s[2:3]
	s_mov_b32 s12, exec_lo
	s_waitcnt vmcnt(1)
	v_and_b32_e32 v3, v3, v32
	v_and_b32_e32 v2, v2, v31
	s_delay_alu instid0(VALU_DEP_2) | instskip(NEXT) | instid1(VALU_DEP_2)
	v_mul_lo_u32 v3, v3, 24
	v_mul_hi_u32 v13, v2, 24
	v_mul_lo_u32 v2, v2, 24
	s_delay_alu instid0(VALU_DEP_2) | instskip(SKIP_1) | instid1(VALU_DEP_2)
	v_add_nc_u32_e32 v3, v13, v3
	s_waitcnt vmcnt(0)
	v_add_co_u32 v2, vcc_lo, v8, v2
	s_delay_alu instid0(VALU_DEP_2)
	v_add_co_ci_u32_e32 v3, vcc_lo, v9, v3, vcc_lo
	global_load_b64 v[29:30], v[2:3], off glc
	s_waitcnt vmcnt(0)
	global_atomic_cmpswap_b64 v[2:3], v10, v[29:32], s[2:3] offset:24 glc
	s_waitcnt vmcnt(0)
	buffer_gl1_inv
	buffer_gl0_inv
	v_cmpx_ne_u64_e64 v[2:3], v[31:32]
	s_cbranch_execz .LBB1_199
; %bb.196:                              ;   in Loop: Header=BB1_145 Depth=1
	s_mov_b32 s13, 0
	.p2align	6
.LBB1_197:                              ;   Parent Loop BB1_145 Depth=1
                                        ; =>  This Inner Loop Header: Depth=2
	s_sleep 1
	s_clause 0x1
	global_load_b64 v[8:9], v10, s[2:3] offset:40
	global_load_b64 v[13:14], v10, s[2:3]
	v_dual_mov_b32 v32, v3 :: v_dual_mov_b32 v31, v2
	s_waitcnt vmcnt(1)
	s_delay_alu instid0(VALU_DEP_1) | instskip(SKIP_1) | instid1(VALU_DEP_1)
	v_and_b32_e32 v8, v8, v31
	s_waitcnt vmcnt(0)
	v_mad_u64_u32 v[2:3], null, v8, 24, v[13:14]
	v_and_b32_e32 v13, v9, v32
	s_delay_alu instid0(VALU_DEP_1) | instskip(NEXT) | instid1(VALU_DEP_1)
	v_mad_u64_u32 v[8:9], null, v13, 24, v[3:4]
	v_mov_b32_e32 v3, v8
	global_load_b64 v[29:30], v[2:3], off glc
	s_waitcnt vmcnt(0)
	global_atomic_cmpswap_b64 v[2:3], v10, v[29:32], s[2:3] offset:24 glc
	s_waitcnt vmcnt(0)
	buffer_gl1_inv
	buffer_gl0_inv
	v_cmp_eq_u64_e32 vcc_lo, v[2:3], v[31:32]
	s_or_b32 s13, vcc_lo, s13
	s_delay_alu instid0(SALU_CYCLE_1)
	s_and_not1_b32 exec_lo, exec_lo, s13
	s_cbranch_execnz .LBB1_197
; %bb.198:                              ;   in Loop: Header=BB1_145 Depth=1
	s_or_b32 exec_lo, exec_lo, s13
.LBB1_199:                              ;   in Loop: Header=BB1_145 Depth=1
	s_delay_alu instid0(SALU_CYCLE_1)
	s_or_b32 exec_lo, exec_lo, s12
.LBB1_200:                              ;   in Loop: Header=BB1_145 Depth=1
	s_delay_alu instid0(SALU_CYCLE_1)
	s_or_b32 exec_lo, exec_lo, s1
	s_clause 0x1
	global_load_b64 v[8:9], v10, s[2:3] offset:40
	global_load_b128 v[29:32], v10, s[2:3]
	v_readfirstlane_b32 s12, v2
	v_readfirstlane_b32 s13, v3
	s_mov_b32 s1, exec_lo
	s_waitcnt vmcnt(1)
	v_readfirstlane_b32 s14, v8
	v_readfirstlane_b32 s15, v9
	s_delay_alu instid0(VALU_DEP_1) | instskip(NEXT) | instid1(SALU_CYCLE_1)
	s_and_b64 s[14:15], s[12:13], s[14:15]
	s_mul_i32 s16, s15, 24
	s_mul_hi_u32 s17, s14, 24
	s_mul_i32 s18, s14, 24
	s_add_i32 s17, s17, s16
	s_waitcnt vmcnt(0)
	v_add_co_u32 v2, vcc_lo, v29, s18
	v_add_co_ci_u32_e32 v3, vcc_lo, s17, v30, vcc_lo
	s_and_saveexec_b32 s16, s0
	s_cbranch_execz .LBB1_202
; %bb.201:                              ;   in Loop: Header=BB1_145 Depth=1
	v_mov_b32_e32 v9, s1
	global_store_b128 v[2:3], v[9:12], off offset:8
.LBB1_202:                              ;   in Loop: Header=BB1_145 Depth=1
	s_or_b32 exec_lo, exec_lo, s16
	s_lshl_b64 s[14:15], s[14:15], 12
	v_cmp_gt_u64_e64 vcc_lo, s[6:7], 56
	v_or_b32_e32 v9, v6, v33
	v_add_co_u32 v31, s1, v31, s14
	s_delay_alu instid0(VALU_DEP_1)
	v_add_co_ci_u32_e64 v32, s1, s15, v32, s1
	s_lshl_b32 s1, s10, 2
	v_or_b32_e32 v8, 0, v7
	v_cndmask_b32_e32 v6, v9, v6, vcc_lo
	s_add_i32 s1, s1, 28
	v_readfirstlane_b32 s14, v31
	s_and_b32 s1, s1, 0x1e0
	v_cndmask_b32_e32 v14, v8, v7, vcc_lo
	v_readfirstlane_b32 s15, v32
	v_and_or_b32 v13, 0xffffff1f, v6, s1
	s_clause 0x3
	global_store_b128 v34, v[13:16], s[14:15]
	global_store_b128 v34, v[17:20], s[14:15] offset:16
	global_store_b128 v34, v[21:24], s[14:15] offset:32
	;; [unrolled: 1-line block ×3, first 2 shown]
	s_and_saveexec_b32 s1, s0
	s_cbranch_execz .LBB1_210
; %bb.203:                              ;   in Loop: Header=BB1_145 Depth=1
	s_clause 0x1
	global_load_b64 v[17:18], v10, s[2:3] offset:32 glc
	global_load_b64 v[6:7], v10, s[2:3] offset:40
	v_dual_mov_b32 v15, s12 :: v_dual_mov_b32 v16, s13
	s_waitcnt vmcnt(0)
	v_readfirstlane_b32 s14, v6
	v_readfirstlane_b32 s15, v7
	s_delay_alu instid0(VALU_DEP_1) | instskip(NEXT) | instid1(SALU_CYCLE_1)
	s_and_b64 s[14:15], s[14:15], s[12:13]
	s_mul_i32 s15, s15, 24
	s_mul_hi_u32 s16, s14, 24
	s_mul_i32 s14, s14, 24
	s_add_i32 s16, s16, s15
	v_add_co_u32 v13, vcc_lo, v29, s14
	v_add_co_ci_u32_e32 v14, vcc_lo, s16, v30, vcc_lo
	s_mov_b32 s14, exec_lo
	global_store_b64 v[13:14], v[17:18], off
	s_waitcnt_vscnt null, 0x0
	global_atomic_cmpswap_b64 v[8:9], v10, v[15:18], s[2:3] offset:32 glc
	s_waitcnt vmcnt(0)
	v_cmpx_ne_u64_e64 v[8:9], v[17:18]
	s_cbranch_execz .LBB1_206
; %bb.204:                              ;   in Loop: Header=BB1_145 Depth=1
	s_mov_b32 s15, 0
.LBB1_205:                              ;   Parent Loop BB1_145 Depth=1
                                        ; =>  This Inner Loop Header: Depth=2
	v_dual_mov_b32 v6, s12 :: v_dual_mov_b32 v7, s13
	s_sleep 1
	global_store_b64 v[13:14], v[8:9], off
	s_waitcnt_vscnt null, 0x0
	global_atomic_cmpswap_b64 v[6:7], v10, v[6:9], s[2:3] offset:32 glc
	s_waitcnt vmcnt(0)
	v_cmp_eq_u64_e32 vcc_lo, v[6:7], v[8:9]
	v_dual_mov_b32 v9, v7 :: v_dual_mov_b32 v8, v6
	s_or_b32 s15, vcc_lo, s15
	s_delay_alu instid0(SALU_CYCLE_1)
	s_and_not1_b32 exec_lo, exec_lo, s15
	s_cbranch_execnz .LBB1_205
.LBB1_206:                              ;   in Loop: Header=BB1_145 Depth=1
	s_or_b32 exec_lo, exec_lo, s14
	global_load_b64 v[6:7], v10, s[2:3] offset:16
	s_mov_b32 s15, exec_lo
	s_mov_b32 s14, exec_lo
	v_mbcnt_lo_u32_b32 v8, s15, 0
	s_delay_alu instid0(VALU_DEP_1)
	v_cmpx_eq_u32_e32 0, v8
	s_cbranch_execz .LBB1_208
; %bb.207:                              ;   in Loop: Header=BB1_145 Depth=1
	s_bcnt1_i32_b32 s15, s15
	s_delay_alu instid0(SALU_CYCLE_1)
	v_mov_b32_e32 v9, s15
	s_waitcnt vmcnt(0)
	global_atomic_add_u64 v[6:7], v[9:10], off offset:8
.LBB1_208:                              ;   in Loop: Header=BB1_145 Depth=1
	s_or_b32 exec_lo, exec_lo, s14
	s_waitcnt vmcnt(0)
	global_load_b64 v[13:14], v[6:7], off offset:16
	s_waitcnt vmcnt(0)
	v_cmp_eq_u64_e32 vcc_lo, 0, v[13:14]
	s_cbranch_vccnz .LBB1_210
; %bb.209:                              ;   in Loop: Header=BB1_145 Depth=1
	global_load_b32 v9, v[6:7], off offset:24
	s_waitcnt vmcnt(0)
	v_and_b32_e32 v6, 0xffffff, v9
	s_waitcnt_vscnt null, 0x0
	global_store_b64 v[13:14], v[9:10], off
	v_readfirstlane_b32 m0, v6
	s_sendmsg sendmsg(MSG_INTERRUPT)
.LBB1_210:                              ;   in Loop: Header=BB1_145 Depth=1
	s_or_b32 exec_lo, exec_lo, s1
	v_add_co_u32 v6, vcc_lo, v31, v34
	v_add_co_ci_u32_e32 v7, vcc_lo, 0, v32, vcc_lo
	s_branch .LBB1_214
	.p2align	6
.LBB1_211:                              ;   in Loop: Header=BB1_214 Depth=2
	s_or_b32 exec_lo, exec_lo, s1
	s_delay_alu instid0(VALU_DEP_1) | instskip(NEXT) | instid1(VALU_DEP_1)
	v_readfirstlane_b32 s1, v8
	s_cmp_eq_u32 s1, 0
	s_cbranch_scc1 .LBB1_213
; %bb.212:                              ;   in Loop: Header=BB1_214 Depth=2
	s_sleep 1
	s_cbranch_execnz .LBB1_214
	s_branch .LBB1_216
	.p2align	6
.LBB1_213:                              ;   in Loop: Header=BB1_145 Depth=1
	s_branch .LBB1_216
.LBB1_214:                              ;   Parent Loop BB1_145 Depth=1
                                        ; =>  This Inner Loop Header: Depth=2
	v_mov_b32_e32 v8, 1
	s_and_saveexec_b32 s1, s0
	s_cbranch_execz .LBB1_211
; %bb.215:                              ;   in Loop: Header=BB1_214 Depth=2
	global_load_b32 v8, v[2:3], off offset:20 glc
	s_waitcnt vmcnt(0)
	buffer_gl1_inv
	buffer_gl0_inv
	v_and_b32_e32 v8, 1, v8
	s_branch .LBB1_211
.LBB1_216:                              ;   in Loop: Header=BB1_145 Depth=1
	global_load_b128 v[6:9], v[6:7], off
	s_and_saveexec_b32 s1, s0
	s_cbranch_execz .LBB1_144
; %bb.217:                              ;   in Loop: Header=BB1_145 Depth=1
	s_clause 0x2
	global_load_b64 v[2:3], v10, s[2:3] offset:40
	global_load_b64 v[8:9], v10, s[2:3] offset:24 glc
	global_load_b64 v[15:16], v10, s[2:3]
	s_waitcnt vmcnt(2)
	v_add_co_u32 v17, vcc_lo, v2, 1
	v_add_co_ci_u32_e32 v18, vcc_lo, 0, v3, vcc_lo
	s_delay_alu instid0(VALU_DEP_2) | instskip(NEXT) | instid1(VALU_DEP_2)
	v_add_co_u32 v13, vcc_lo, v17, s12
	v_add_co_ci_u32_e32 v14, vcc_lo, s13, v18, vcc_lo
	s_delay_alu instid0(VALU_DEP_1) | instskip(SKIP_1) | instid1(VALU_DEP_1)
	v_cmp_eq_u64_e32 vcc_lo, 0, v[13:14]
	v_dual_cndmask_b32 v14, v14, v18 :: v_dual_cndmask_b32 v13, v13, v17
	v_and_b32_e32 v3, v14, v3
	s_delay_alu instid0(VALU_DEP_2) | instskip(NEXT) | instid1(VALU_DEP_2)
	v_and_b32_e32 v2, v13, v2
	v_mul_lo_u32 v3, v3, 24
	s_delay_alu instid0(VALU_DEP_2) | instskip(SKIP_1) | instid1(VALU_DEP_2)
	v_mul_hi_u32 v17, v2, 24
	v_mul_lo_u32 v2, v2, 24
	v_add_nc_u32_e32 v3, v17, v3
	s_waitcnt vmcnt(0)
	s_delay_alu instid0(VALU_DEP_2) | instskip(SKIP_1) | instid1(VALU_DEP_3)
	v_add_co_u32 v2, vcc_lo, v15, v2
	v_mov_b32_e32 v15, v8
	v_add_co_ci_u32_e32 v3, vcc_lo, v16, v3, vcc_lo
	v_mov_b32_e32 v16, v9
	global_store_b64 v[2:3], v[8:9], off
	s_waitcnt_vscnt null, 0x0
	global_atomic_cmpswap_b64 v[15:16], v10, v[13:16], s[2:3] offset:24 glc
	s_waitcnt vmcnt(0)
	v_cmp_ne_u64_e32 vcc_lo, v[15:16], v[8:9]
	s_and_b32 exec_lo, exec_lo, vcc_lo
	s_cbranch_execz .LBB1_144
; %bb.218:                              ;   in Loop: Header=BB1_145 Depth=1
	s_mov_b32 s0, 0
.LBB1_219:                              ;   Parent Loop BB1_145 Depth=1
                                        ; =>  This Inner Loop Header: Depth=2
	s_sleep 1
	global_store_b64 v[2:3], v[15:16], off
	s_waitcnt_vscnt null, 0x0
	global_atomic_cmpswap_b64 v[8:9], v10, v[13:16], s[2:3] offset:24 glc
	s_waitcnt vmcnt(0)
	v_cmp_eq_u64_e32 vcc_lo, v[8:9], v[15:16]
	v_dual_mov_b32 v16, v9 :: v_dual_mov_b32 v15, v8
	s_or_b32 s0, vcc_lo, s0
	s_delay_alu instid0(SALU_CYCLE_1)
	s_and_not1_b32 exec_lo, exec_lo, s0
	s_cbranch_execnz .LBB1_219
	s_branch .LBB1_144
.LBB1_220:
                                        ; implicit-def: $vgpr6_vgpr7
	s_cbranch_execnz .LBB1_222
	s_branch .LBB1_249
.LBB1_221:
	s_branch .LBB1_249
.LBB1_222:
	v_readfirstlane_b32 s0, v35
	v_mov_b32_e32 v10, 0
	v_mov_b32_e32 v11, 0
	s_delay_alu instid0(VALU_DEP_3) | instskip(NEXT) | instid1(VALU_DEP_1)
	v_cmp_eq_u32_e64 s0, s0, v35
	s_and_saveexec_b32 s1, s0
	s_cbranch_execz .LBB1_228
; %bb.223:
	s_waitcnt vmcnt(0)
	v_mov_b32_e32 v2, 0
	s_mov_b32 s4, exec_lo
	global_load_b64 v[8:9], v2, s[2:3] offset:24 glc
	s_waitcnt vmcnt(0)
	buffer_gl1_inv
	buffer_gl0_inv
	s_clause 0x1
	global_load_b64 v[6:7], v2, s[2:3] offset:40
	global_load_b64 v[10:11], v2, s[2:3]
	s_waitcnt vmcnt(1)
	v_and_b32_e32 v3, v7, v9
	v_and_b32_e32 v6, v6, v8
	s_delay_alu instid0(VALU_DEP_2) | instskip(NEXT) | instid1(VALU_DEP_2)
	v_mul_lo_u32 v3, v3, 24
	v_mul_hi_u32 v7, v6, 24
	v_mul_lo_u32 v6, v6, 24
	s_delay_alu instid0(VALU_DEP_2) | instskip(SKIP_1) | instid1(VALU_DEP_2)
	v_add_nc_u32_e32 v3, v7, v3
	s_waitcnt vmcnt(0)
	v_add_co_u32 v6, vcc_lo, v10, v6
	s_delay_alu instid0(VALU_DEP_2)
	v_add_co_ci_u32_e32 v7, vcc_lo, v11, v3, vcc_lo
	global_load_b64 v[6:7], v[6:7], off glc
	s_waitcnt vmcnt(0)
	global_atomic_cmpswap_b64 v[10:11], v2, v[6:9], s[2:3] offset:24 glc
	s_waitcnt vmcnt(0)
	buffer_gl1_inv
	buffer_gl0_inv
	v_cmpx_ne_u64_e64 v[10:11], v[8:9]
	s_cbranch_execz .LBB1_227
; %bb.224:
	s_mov_b32 s5, 0
	.p2align	6
.LBB1_225:                              ; =>This Inner Loop Header: Depth=1
	s_sleep 1
	s_clause 0x1
	global_load_b64 v[6:7], v2, s[2:3] offset:40
	global_load_b64 v[12:13], v2, s[2:3]
	v_dual_mov_b32 v8, v10 :: v_dual_mov_b32 v9, v11
	s_waitcnt vmcnt(1)
	s_delay_alu instid0(VALU_DEP_1) | instskip(SKIP_1) | instid1(VALU_DEP_1)
	v_and_b32_e32 v3, v6, v8
	s_waitcnt vmcnt(0)
	v_mad_u64_u32 v[10:11], null, v3, 24, v[12:13]
	v_and_b32_e32 v12, v7, v9
	s_delay_alu instid0(VALU_DEP_2) | instskip(NEXT) | instid1(VALU_DEP_1)
	v_mov_b32_e32 v3, v11
	v_mad_u64_u32 v[6:7], null, v12, 24, v[3:4]
	s_delay_alu instid0(VALU_DEP_1)
	v_mov_b32_e32 v11, v6
	global_load_b64 v[6:7], v[10:11], off glc
	s_waitcnt vmcnt(0)
	global_atomic_cmpswap_b64 v[10:11], v2, v[6:9], s[2:3] offset:24 glc
	s_waitcnt vmcnt(0)
	buffer_gl1_inv
	buffer_gl0_inv
	v_cmp_eq_u64_e32 vcc_lo, v[10:11], v[8:9]
	s_or_b32 s5, vcc_lo, s5
	s_delay_alu instid0(SALU_CYCLE_1)
	s_and_not1_b32 exec_lo, exec_lo, s5
	s_cbranch_execnz .LBB1_225
; %bb.226:
	s_or_b32 exec_lo, exec_lo, s5
.LBB1_227:
	s_delay_alu instid0(SALU_CYCLE_1)
	s_or_b32 exec_lo, exec_lo, s4
.LBB1_228:
	s_delay_alu instid0(SALU_CYCLE_1)
	s_or_b32 exec_lo, exec_lo, s1
	s_waitcnt vmcnt(0)
	v_mov_b32_e32 v2, 0
	v_readfirstlane_b32 s4, v10
	v_readfirstlane_b32 s5, v11
	s_mov_b32 s1, exec_lo
	s_clause 0x1
	global_load_b64 v[12:13], v2, s[2:3] offset:40
	global_load_b128 v[6:9], v2, s[2:3]
	s_waitcnt vmcnt(1)
	v_readfirstlane_b32 s6, v12
	v_readfirstlane_b32 s7, v13
	s_delay_alu instid0(VALU_DEP_1) | instskip(NEXT) | instid1(SALU_CYCLE_1)
	s_and_b64 s[6:7], s[4:5], s[6:7]
	s_mul_i32 s10, s7, 24
	s_mul_hi_u32 s11, s6, 24
	s_mul_i32 s12, s6, 24
	s_add_i32 s11, s11, s10
	s_waitcnt vmcnt(0)
	v_add_co_u32 v10, vcc_lo, v6, s12
	v_add_co_ci_u32_e32 v11, vcc_lo, s11, v7, vcc_lo
	s_and_saveexec_b32 s10, s0
	s_cbranch_execz .LBB1_230
; %bb.229:
	v_dual_mov_b32 v12, s1 :: v_dual_mov_b32 v13, v2
	v_dual_mov_b32 v14, 2 :: v_dual_mov_b32 v15, 1
	global_store_b128 v[10:11], v[12:15], off offset:8
.LBB1_230:
	s_or_b32 exec_lo, exec_lo, s10
	s_lshl_b64 s[6:7], s[6:7], 12
	s_mov_b32 s12, 0
	v_add_co_u32 v8, vcc_lo, v8, s6
	v_add_co_ci_u32_e32 v9, vcc_lo, s7, v9, vcc_lo
	s_mov_b32 s13, s12
	s_delay_alu instid0(VALU_DEP_2)
	v_readfirstlane_b32 s6, v8
	v_add_co_u32 v8, vcc_lo, v8, v34
	s_mov_b32 s14, s12
	s_mov_b32 s15, s12
	v_and_or_b32 v0, 0xffffff1f, v0, 32
	v_dual_mov_b32 v3, v2 :: v_dual_mov_b32 v12, s12
	v_readfirstlane_b32 s7, v9
	v_add_co_ci_u32_e32 v9, vcc_lo, 0, v9, vcc_lo
	v_dual_mov_b32 v13, s13 :: v_dual_mov_b32 v14, s14
	v_mov_b32_e32 v15, s15
	s_clause 0x3
	global_store_b128 v34, v[0:3], s[6:7]
	global_store_b128 v34, v[12:15], s[6:7] offset:16
	global_store_b128 v34, v[12:15], s[6:7] offset:32
	;; [unrolled: 1-line block ×3, first 2 shown]
	s_and_saveexec_b32 s1, s0
	s_cbranch_execz .LBB1_238
; %bb.231:
	v_dual_mov_b32 v12, 0 :: v_dual_mov_b32 v13, s4
	v_mov_b32_e32 v14, s5
	s_clause 0x1
	global_load_b64 v[15:16], v12, s[2:3] offset:32 glc
	global_load_b64 v[0:1], v12, s[2:3] offset:40
	s_waitcnt vmcnt(0)
	v_readfirstlane_b32 s6, v0
	v_readfirstlane_b32 s7, v1
	s_delay_alu instid0(VALU_DEP_1) | instskip(NEXT) | instid1(SALU_CYCLE_1)
	s_and_b64 s[6:7], s[6:7], s[4:5]
	s_mul_i32 s7, s7, 24
	s_mul_hi_u32 s10, s6, 24
	s_mul_i32 s6, s6, 24
	s_add_i32 s10, s10, s7
	v_add_co_u32 v6, vcc_lo, v6, s6
	v_add_co_ci_u32_e32 v7, vcc_lo, s10, v7, vcc_lo
	s_mov_b32 s6, exec_lo
	global_store_b64 v[6:7], v[15:16], off
	s_waitcnt_vscnt null, 0x0
	global_atomic_cmpswap_b64 v[2:3], v12, v[13:16], s[2:3] offset:32 glc
	s_waitcnt vmcnt(0)
	v_cmpx_ne_u64_e64 v[2:3], v[15:16]
	s_cbranch_execz .LBB1_234
; %bb.232:
	s_mov_b32 s7, 0
.LBB1_233:                              ; =>This Inner Loop Header: Depth=1
	v_dual_mov_b32 v0, s4 :: v_dual_mov_b32 v1, s5
	s_sleep 1
	global_store_b64 v[6:7], v[2:3], off
	s_waitcnt_vscnt null, 0x0
	global_atomic_cmpswap_b64 v[0:1], v12, v[0:3], s[2:3] offset:32 glc
	s_waitcnt vmcnt(0)
	v_cmp_eq_u64_e32 vcc_lo, v[0:1], v[2:3]
	v_dual_mov_b32 v3, v1 :: v_dual_mov_b32 v2, v0
	s_or_b32 s7, vcc_lo, s7
	s_delay_alu instid0(SALU_CYCLE_1)
	s_and_not1_b32 exec_lo, exec_lo, s7
	s_cbranch_execnz .LBB1_233
.LBB1_234:
	s_or_b32 exec_lo, exec_lo, s6
	v_mov_b32_e32 v3, 0
	s_mov_b32 s7, exec_lo
	s_mov_b32 s6, exec_lo
	v_mbcnt_lo_u32_b32 v2, s7, 0
	global_load_b64 v[0:1], v3, s[2:3] offset:16
	v_cmpx_eq_u32_e32 0, v2
	s_cbranch_execz .LBB1_236
; %bb.235:
	s_bcnt1_i32_b32 s7, s7
	s_delay_alu instid0(SALU_CYCLE_1)
	v_mov_b32_e32 v2, s7
	s_waitcnt vmcnt(0)
	global_atomic_add_u64 v[0:1], v[2:3], off offset:8
.LBB1_236:
	s_or_b32 exec_lo, exec_lo, s6
	s_waitcnt vmcnt(0)
	global_load_b64 v[2:3], v[0:1], off offset:16
	s_waitcnt vmcnt(0)
	v_cmp_eq_u64_e32 vcc_lo, 0, v[2:3]
	s_cbranch_vccnz .LBB1_238
; %bb.237:
	global_load_b32 v0, v[0:1], off offset:24
	s_waitcnt vmcnt(0)
	v_dual_mov_b32 v1, 0 :: v_dual_and_b32 v6, 0xffffff, v0
	s_waitcnt_vscnt null, 0x0
	global_store_b64 v[2:3], v[0:1], off
	v_readfirstlane_b32 m0, v6
	s_sendmsg sendmsg(MSG_INTERRUPT)
.LBB1_238:
	s_or_b32 exec_lo, exec_lo, s1
	s_branch .LBB1_242
	.p2align	6
.LBB1_239:                              ;   in Loop: Header=BB1_242 Depth=1
	s_or_b32 exec_lo, exec_lo, s1
	s_delay_alu instid0(VALU_DEP_1) | instskip(NEXT) | instid1(VALU_DEP_1)
	v_readfirstlane_b32 s1, v0
	s_cmp_eq_u32 s1, 0
	s_cbranch_scc1 .LBB1_241
; %bb.240:                              ;   in Loop: Header=BB1_242 Depth=1
	s_sleep 1
	s_cbranch_execnz .LBB1_242
	s_branch .LBB1_244
	.p2align	6
.LBB1_241:
	s_branch .LBB1_244
.LBB1_242:                              ; =>This Inner Loop Header: Depth=1
	v_mov_b32_e32 v0, 1
	s_and_saveexec_b32 s1, s0
	s_cbranch_execz .LBB1_239
; %bb.243:                              ;   in Loop: Header=BB1_242 Depth=1
	global_load_b32 v0, v[10:11], off offset:20 glc
	s_waitcnt vmcnt(0)
	buffer_gl1_inv
	buffer_gl0_inv
	v_and_b32_e32 v0, 1, v0
	s_branch .LBB1_239
.LBB1_244:
	global_load_b64 v[6:7], v[8:9], off
	s_and_saveexec_b32 s1, s0
	s_cbranch_execz .LBB1_248
; %bb.245:
	v_mov_b32_e32 v10, 0
	s_clause 0x2
	global_load_b64 v[2:3], v10, s[2:3] offset:40
	global_load_b64 v[11:12], v10, s[2:3] offset:24 glc
	global_load_b64 v[8:9], v10, s[2:3]
	s_waitcnt vmcnt(2)
	v_add_co_u32 v13, vcc_lo, v2, 1
	v_add_co_ci_u32_e32 v14, vcc_lo, 0, v3, vcc_lo
	s_delay_alu instid0(VALU_DEP_2) | instskip(NEXT) | instid1(VALU_DEP_2)
	v_add_co_u32 v0, vcc_lo, v13, s4
	v_add_co_ci_u32_e32 v1, vcc_lo, s5, v14, vcc_lo
	s_delay_alu instid0(VALU_DEP_1) | instskip(SKIP_1) | instid1(VALU_DEP_1)
	v_cmp_eq_u64_e32 vcc_lo, 0, v[0:1]
	v_dual_cndmask_b32 v1, v1, v14 :: v_dual_cndmask_b32 v0, v0, v13
	v_and_b32_e32 v3, v1, v3
	s_delay_alu instid0(VALU_DEP_2) | instskip(NEXT) | instid1(VALU_DEP_2)
	v_and_b32_e32 v2, v0, v2
	v_mul_lo_u32 v3, v3, 24
	s_delay_alu instid0(VALU_DEP_2) | instskip(SKIP_1) | instid1(VALU_DEP_2)
	v_mul_hi_u32 v13, v2, 24
	v_mul_lo_u32 v2, v2, 24
	v_add_nc_u32_e32 v3, v13, v3
	s_waitcnt vmcnt(0)
	s_delay_alu instid0(VALU_DEP_2) | instskip(SKIP_1) | instid1(VALU_DEP_3)
	v_add_co_u32 v8, vcc_lo, v8, v2
	v_mov_b32_e32 v2, v11
	v_add_co_ci_u32_e32 v9, vcc_lo, v9, v3, vcc_lo
	v_mov_b32_e32 v3, v12
	global_store_b64 v[8:9], v[11:12], off
	s_waitcnt_vscnt null, 0x0
	global_atomic_cmpswap_b64 v[2:3], v10, v[0:3], s[2:3] offset:24 glc
	s_waitcnt vmcnt(0)
	v_cmp_ne_u64_e32 vcc_lo, v[2:3], v[11:12]
	s_and_b32 exec_lo, exec_lo, vcc_lo
	s_cbranch_execz .LBB1_248
; %bb.246:
	s_mov_b32 s0, 0
.LBB1_247:                              ; =>This Inner Loop Header: Depth=1
	s_sleep 1
	global_store_b64 v[8:9], v[2:3], off
	s_waitcnt_vscnt null, 0x0
	global_atomic_cmpswap_b64 v[11:12], v10, v[0:3], s[2:3] offset:24 glc
	s_waitcnt vmcnt(0)
	v_cmp_eq_u64_e32 vcc_lo, v[11:12], v[2:3]
	v_dual_mov_b32 v2, v11 :: v_dual_mov_b32 v3, v12
	s_or_b32 s0, vcc_lo, s0
	s_delay_alu instid0(SALU_CYCLE_1)
	s_and_not1_b32 exec_lo, exec_lo, s0
	s_cbranch_execnz .LBB1_247
.LBB1_248:
	s_or_b32 exec_lo, exec_lo, s1
.LBB1_249:
	v_readfirstlane_b32 s0, v35
	v_mov_b32_e32 v10, 0
	v_mov_b32_e32 v11, 0
	s_delay_alu instid0(VALU_DEP_3) | instskip(NEXT) | instid1(VALU_DEP_1)
	v_cmp_eq_u32_e64 s0, s0, v35
	s_and_saveexec_b32 s1, s0
	s_cbranch_execz .LBB1_255
; %bb.250:
	s_waitcnt vmcnt(0)
	v_mov_b32_e32 v0, 0
	s_mov_b32 s4, exec_lo
	global_load_b64 v[12:13], v0, s[2:3] offset:24 glc
	s_waitcnt vmcnt(0)
	buffer_gl1_inv
	buffer_gl0_inv
	s_clause 0x1
	global_load_b64 v[1:2], v0, s[2:3] offset:40
	global_load_b64 v[8:9], v0, s[2:3]
	s_waitcnt vmcnt(1)
	v_and_b32_e32 v1, v1, v12
	v_and_b32_e32 v2, v2, v13
	s_delay_alu instid0(VALU_DEP_2) | instskip(NEXT) | instid1(VALU_DEP_2)
	v_mul_hi_u32 v3, v1, 24
	v_mul_lo_u32 v2, v2, 24
	v_mul_lo_u32 v1, v1, 24
	s_delay_alu instid0(VALU_DEP_2) | instskip(SKIP_1) | instid1(VALU_DEP_2)
	v_add_nc_u32_e32 v2, v3, v2
	s_waitcnt vmcnt(0)
	v_add_co_u32 v1, vcc_lo, v8, v1
	s_delay_alu instid0(VALU_DEP_2)
	v_add_co_ci_u32_e32 v2, vcc_lo, v9, v2, vcc_lo
	global_load_b64 v[10:11], v[1:2], off glc
	s_waitcnt vmcnt(0)
	global_atomic_cmpswap_b64 v[10:11], v0, v[10:13], s[2:3] offset:24 glc
	s_waitcnt vmcnt(0)
	buffer_gl1_inv
	buffer_gl0_inv
	v_cmpx_ne_u64_e64 v[10:11], v[12:13]
	s_cbranch_execz .LBB1_254
; %bb.251:
	s_mov_b32 s5, 0
	.p2align	6
.LBB1_252:                              ; =>This Inner Loop Header: Depth=1
	s_sleep 1
	s_clause 0x1
	global_load_b64 v[1:2], v0, s[2:3] offset:40
	global_load_b64 v[8:9], v0, s[2:3]
	v_dual_mov_b32 v13, v11 :: v_dual_mov_b32 v12, v10
	s_waitcnt vmcnt(1)
	s_delay_alu instid0(VALU_DEP_1) | instskip(SKIP_1) | instid1(VALU_DEP_1)
	v_and_b32_e32 v1, v1, v12
	s_waitcnt vmcnt(0)
	v_mad_u64_u32 v[10:11], null, v1, 24, v[8:9]
	s_delay_alu instid0(VALU_DEP_1) | instskip(NEXT) | instid1(VALU_DEP_1)
	v_dual_mov_b32 v1, v11 :: v_dual_and_b32 v8, v2, v13
	v_mad_u64_u32 v[2:3], null, v8, 24, v[1:2]
	s_delay_alu instid0(VALU_DEP_1)
	v_mov_b32_e32 v11, v2
	global_load_b64 v[10:11], v[10:11], off glc
	s_waitcnt vmcnt(0)
	global_atomic_cmpswap_b64 v[10:11], v0, v[10:13], s[2:3] offset:24 glc
	s_waitcnt vmcnt(0)
	buffer_gl1_inv
	buffer_gl0_inv
	v_cmp_eq_u64_e32 vcc_lo, v[10:11], v[12:13]
	s_or_b32 s5, vcc_lo, s5
	s_delay_alu instid0(SALU_CYCLE_1)
	s_and_not1_b32 exec_lo, exec_lo, s5
	s_cbranch_execnz .LBB1_252
; %bb.253:
	s_or_b32 exec_lo, exec_lo, s5
.LBB1_254:
	s_delay_alu instid0(SALU_CYCLE_1)
	s_or_b32 exec_lo, exec_lo, s4
.LBB1_255:
	s_delay_alu instid0(SALU_CYCLE_1)
	s_or_b32 exec_lo, exec_lo, s1
	s_waitcnt vmcnt(0)
	v_mov_b32_e32 v9, 0
	v_readfirstlane_b32 s4, v10
	v_readfirstlane_b32 s5, v11
	s_mov_b32 s1, exec_lo
	s_clause 0x1
	global_load_b64 v[12:13], v9, s[2:3] offset:40
	global_load_b128 v[0:3], v9, s[2:3]
	s_waitcnt vmcnt(1)
	v_readfirstlane_b32 s6, v12
	v_readfirstlane_b32 s7, v13
	s_delay_alu instid0(VALU_DEP_1) | instskip(NEXT) | instid1(SALU_CYCLE_1)
	s_and_b64 s[6:7], s[4:5], s[6:7]
	s_mul_i32 s10, s7, 24
	s_mul_hi_u32 s11, s6, 24
	s_mul_i32 s12, s6, 24
	s_add_i32 s11, s11, s10
	s_waitcnt vmcnt(0)
	v_add_co_u32 v10, vcc_lo, v0, s12
	v_add_co_ci_u32_e32 v11, vcc_lo, s11, v1, vcc_lo
	s_and_saveexec_b32 s10, s0
	s_cbranch_execz .LBB1_257
; %bb.256:
	v_dual_mov_b32 v8, s1 :: v_dual_mov_b32 v15, 1
	v_dual_mov_b32 v14, 2 :: v_dual_mov_b32 v13, v9
	s_delay_alu instid0(VALU_DEP_2)
	v_mov_b32_e32 v12, v8
	global_store_b128 v[10:11], v[12:15], off offset:8
.LBB1_257:
	s_or_b32 exec_lo, exec_lo, s10
	s_lshl_b64 s[6:7], s[6:7], 12
	s_mov_b32 s12, 0
	v_add_co_u32 v2, vcc_lo, v2, s6
	v_add_co_ci_u32_e32 v3, vcc_lo, s7, v3, vcc_lo
	s_mov_b32 s15, s12
	s_delay_alu instid0(VALU_DEP_2)
	v_add_co_u32 v12, vcc_lo, v2, v34
	s_mov_b32 s13, s12
	s_mov_b32 s14, s12
	v_and_or_b32 v6, 0xffffff1f, v6, 32
	v_dual_mov_b32 v8, 0x331 :: v_dual_mov_b32 v17, s15
	v_readfirstlane_b32 s6, v2
	v_readfirstlane_b32 s7, v3
	v_add_co_ci_u32_e32 v13, vcc_lo, 0, v3, vcc_lo
	v_dual_mov_b32 v16, s14 :: v_dual_mov_b32 v15, s13
	v_mov_b32_e32 v14, s12
	s_clause 0x3
	global_store_b128 v34, v[6:9], s[6:7]
	global_store_b128 v34, v[14:17], s[6:7] offset:16
	global_store_b128 v34, v[14:17], s[6:7] offset:32
	;; [unrolled: 1-line block ×3, first 2 shown]
	s_and_saveexec_b32 s1, s0
	s_cbranch_execz .LBB1_265
; %bb.258:
	v_dual_mov_b32 v8, 0 :: v_dual_mov_b32 v15, s5
	v_mov_b32_e32 v14, s4
	s_clause 0x1
	global_load_b64 v[16:17], v8, s[2:3] offset:32 glc
	global_load_b64 v[2:3], v8, s[2:3] offset:40
	s_waitcnt vmcnt(0)
	v_readfirstlane_b32 s6, v2
	v_readfirstlane_b32 s7, v3
	s_delay_alu instid0(VALU_DEP_1) | instskip(NEXT) | instid1(SALU_CYCLE_1)
	s_and_b64 s[6:7], s[6:7], s[4:5]
	s_mul_i32 s7, s7, 24
	s_mul_hi_u32 s10, s6, 24
	s_mul_i32 s6, s6, 24
	s_add_i32 s10, s10, s7
	v_add_co_u32 v6, vcc_lo, v0, s6
	v_add_co_ci_u32_e32 v7, vcc_lo, s10, v1, vcc_lo
	s_mov_b32 s6, exec_lo
	global_store_b64 v[6:7], v[16:17], off
	s_waitcnt_vscnt null, 0x0
	global_atomic_cmpswap_b64 v[2:3], v8, v[14:17], s[2:3] offset:32 glc
	s_waitcnt vmcnt(0)
	v_cmpx_ne_u64_e64 v[2:3], v[16:17]
	s_cbranch_execz .LBB1_261
; %bb.259:
	s_mov_b32 s7, 0
.LBB1_260:                              ; =>This Inner Loop Header: Depth=1
	v_dual_mov_b32 v0, s4 :: v_dual_mov_b32 v1, s5
	s_sleep 1
	global_store_b64 v[6:7], v[2:3], off
	s_waitcnt_vscnt null, 0x0
	global_atomic_cmpswap_b64 v[0:1], v8, v[0:3], s[2:3] offset:32 glc
	s_waitcnt vmcnt(0)
	v_cmp_eq_u64_e32 vcc_lo, v[0:1], v[2:3]
	v_dual_mov_b32 v3, v1 :: v_dual_mov_b32 v2, v0
	s_or_b32 s7, vcc_lo, s7
	s_delay_alu instid0(SALU_CYCLE_1)
	s_and_not1_b32 exec_lo, exec_lo, s7
	s_cbranch_execnz .LBB1_260
.LBB1_261:
	s_or_b32 exec_lo, exec_lo, s6
	v_mov_b32_e32 v3, 0
	s_mov_b32 s7, exec_lo
	s_mov_b32 s6, exec_lo
	v_mbcnt_lo_u32_b32 v2, s7, 0
	global_load_b64 v[0:1], v3, s[2:3] offset:16
	v_cmpx_eq_u32_e32 0, v2
	s_cbranch_execz .LBB1_263
; %bb.262:
	s_bcnt1_i32_b32 s7, s7
	s_delay_alu instid0(SALU_CYCLE_1)
	v_mov_b32_e32 v2, s7
	s_waitcnt vmcnt(0)
	global_atomic_add_u64 v[0:1], v[2:3], off offset:8
.LBB1_263:
	s_or_b32 exec_lo, exec_lo, s6
	s_waitcnt vmcnt(0)
	global_load_b64 v[2:3], v[0:1], off offset:16
	s_waitcnt vmcnt(0)
	v_cmp_eq_u64_e32 vcc_lo, 0, v[2:3]
	s_cbranch_vccnz .LBB1_265
; %bb.264:
	global_load_b32 v0, v[0:1], off offset:24
	s_waitcnt vmcnt(0)
	v_dual_mov_b32 v1, 0 :: v_dual_and_b32 v6, 0xffffff, v0
	s_waitcnt_vscnt null, 0x0
	global_store_b64 v[2:3], v[0:1], off
	v_readfirstlane_b32 m0, v6
	s_sendmsg sendmsg(MSG_INTERRUPT)
.LBB1_265:
	s_or_b32 exec_lo, exec_lo, s1
	s_branch .LBB1_269
	.p2align	6
.LBB1_266:                              ;   in Loop: Header=BB1_269 Depth=1
	s_or_b32 exec_lo, exec_lo, s1
	s_delay_alu instid0(VALU_DEP_1) | instskip(NEXT) | instid1(VALU_DEP_1)
	v_readfirstlane_b32 s1, v0
	s_cmp_eq_u32 s1, 0
	s_cbranch_scc1 .LBB1_268
; %bb.267:                              ;   in Loop: Header=BB1_269 Depth=1
	s_sleep 1
	s_cbranch_execnz .LBB1_269
	s_branch .LBB1_271
	.p2align	6
.LBB1_268:
	s_branch .LBB1_271
.LBB1_269:                              ; =>This Inner Loop Header: Depth=1
	v_mov_b32_e32 v0, 1
	s_and_saveexec_b32 s1, s0
	s_cbranch_execz .LBB1_266
; %bb.270:                              ;   in Loop: Header=BB1_269 Depth=1
	global_load_b32 v0, v[10:11], off offset:20 glc
	s_waitcnt vmcnt(0)
	buffer_gl1_inv
	buffer_gl0_inv
	v_and_b32_e32 v0, 1, v0
	s_branch .LBB1_266
.LBB1_271:
	global_load_b64 v[0:1], v[12:13], off
	s_and_saveexec_b32 s1, s0
	s_cbranch_execz .LBB1_275
; %bb.272:
	v_mov_b32_e32 v10, 0
	s_clause 0x2
	global_load_b64 v[2:3], v10, s[2:3] offset:40
	global_load_b64 v[11:12], v10, s[2:3] offset:24 glc
	global_load_b64 v[8:9], v10, s[2:3]
	s_waitcnt vmcnt(2)
	v_add_co_u32 v13, vcc_lo, v2, 1
	v_add_co_ci_u32_e32 v14, vcc_lo, 0, v3, vcc_lo
	s_delay_alu instid0(VALU_DEP_2) | instskip(NEXT) | instid1(VALU_DEP_2)
	v_add_co_u32 v6, vcc_lo, v13, s4
	v_add_co_ci_u32_e32 v7, vcc_lo, s5, v14, vcc_lo
	s_delay_alu instid0(VALU_DEP_1) | instskip(SKIP_1) | instid1(VALU_DEP_1)
	v_cmp_eq_u64_e32 vcc_lo, 0, v[6:7]
	v_dual_cndmask_b32 v7, v7, v14 :: v_dual_cndmask_b32 v6, v6, v13
	v_and_b32_e32 v3, v7, v3
	s_delay_alu instid0(VALU_DEP_2) | instskip(NEXT) | instid1(VALU_DEP_2)
	v_and_b32_e32 v2, v6, v2
	v_mul_lo_u32 v3, v3, 24
	s_delay_alu instid0(VALU_DEP_2) | instskip(SKIP_1) | instid1(VALU_DEP_2)
	v_mul_hi_u32 v13, v2, 24
	v_mul_lo_u32 v2, v2, 24
	v_add_nc_u32_e32 v3, v13, v3
	s_waitcnt vmcnt(0)
	s_delay_alu instid0(VALU_DEP_2) | instskip(SKIP_1) | instid1(VALU_DEP_3)
	v_add_co_u32 v2, vcc_lo, v8, v2
	v_mov_b32_e32 v8, v11
	v_add_co_ci_u32_e32 v3, vcc_lo, v9, v3, vcc_lo
	v_mov_b32_e32 v9, v12
	global_store_b64 v[2:3], v[11:12], off
	s_waitcnt_vscnt null, 0x0
	global_atomic_cmpswap_b64 v[8:9], v10, v[6:9], s[2:3] offset:24 glc
	s_waitcnt vmcnt(0)
	v_cmp_ne_u64_e32 vcc_lo, v[8:9], v[11:12]
	s_and_b32 exec_lo, exec_lo, vcc_lo
	s_cbranch_execz .LBB1_275
; %bb.273:
	s_mov_b32 s0, 0
.LBB1_274:                              ; =>This Inner Loop Header: Depth=1
	s_sleep 1
	global_store_b64 v[2:3], v[8:9], off
	s_waitcnt_vscnt null, 0x0
	global_atomic_cmpswap_b64 v[11:12], v10, v[6:9], s[2:3] offset:24 glc
	s_waitcnt vmcnt(0)
	v_cmp_eq_u64_e32 vcc_lo, v[11:12], v[8:9]
	v_dual_mov_b32 v8, v11 :: v_dual_mov_b32 v9, v12
	s_or_b32 s0, vcc_lo, s0
	s_delay_alu instid0(SALU_CYCLE_1)
	s_and_not1_b32 exec_lo, exec_lo, s0
	s_cbranch_execnz .LBB1_274
.LBB1_275:
	s_or_b32 exec_lo, exec_lo, s1
	v_dual_mov_b32 v7, v5 :: v_dual_mov_b32 v6, v4
	s_mov_b32 s0, 0
.LBB1_276:                              ; =>This Inner Loop Header: Depth=1
	flat_load_u8 v8, v[6:7]
	v_add_co_u32 v2, vcc_lo, v6, 1
	v_add_co_ci_u32_e32 v3, vcc_lo, 0, v7, vcc_lo
	s_delay_alu instid0(VALU_DEP_1) | instskip(SKIP_3) | instid1(SALU_CYCLE_1)
	v_dual_mov_b32 v7, v3 :: v_dual_mov_b32 v6, v2
	s_waitcnt vmcnt(0) lgkmcnt(0)
	v_cmp_eq_u16_e32 vcc_lo, 0, v8
	s_or_b32 s0, vcc_lo, s0
	s_and_not1_b32 exec_lo, exec_lo, s0
	s_cbranch_execnz .LBB1_276
; %bb.277:
	s_or_b32 exec_lo, exec_lo, s0
	s_delay_alu instid0(SALU_CYCLE_1)
	s_mov_b32 s0, exec_lo
	v_cmpx_ne_u64_e32 0, v[4:5]
	s_xor_b32 s10, exec_lo, s0
	s_cbranch_execz .LBB1_363
; %bb.278:
	v_sub_nc_u32_e32 v26, v2, v4
	v_dual_mov_b32 v7, 0 :: v_dual_and_b32 v32, 2, v0
	v_dual_mov_b32 v9, 1 :: v_dual_and_b32 v0, -3, v0
	v_mov_b32_e32 v8, 2
	s_delay_alu instid0(VALU_DEP_4)
	v_ashrrev_i32_e32 v27, 31, v26
	s_mov_b32 s12, 0
	s_mov_b32 s11, 0
	s_branch .LBB1_280
.LBB1_279:                              ;   in Loop: Header=BB1_280 Depth=1
	s_or_b32 exec_lo, exec_lo, s1
	v_sub_co_u32 v26, vcc_lo, v26, v28
	v_sub_co_ci_u32_e32 v27, vcc_lo, v27, v29, vcc_lo
	v_add_co_u32 v4, s0, v4, v28
	s_delay_alu instid0(VALU_DEP_1) | instskip(NEXT) | instid1(VALU_DEP_3)
	v_add_co_ci_u32_e64 v5, s0, v5, v29, s0
	v_cmp_eq_u64_e32 vcc_lo, 0, v[26:27]
	s_or_b32 s11, vcc_lo, s11
	s_delay_alu instid0(SALU_CYCLE_1)
	s_and_not1_b32 exec_lo, exec_lo, s11
	s_cbranch_execz .LBB1_362
.LBB1_280:                              ; =>This Loop Header: Depth=1
                                        ;     Child Loop BB1_283 Depth 2
                                        ;     Child Loop BB1_291 Depth 2
	;; [unrolled: 1-line block ×11, first 2 shown]
	s_delay_alu instid0(VALU_DEP_1)
	v_cmp_gt_u64_e32 vcc_lo, 56, v[26:27]
	s_mov_b32 s1, exec_lo
                                        ; implicit-def: $vgpr2_vgpr3
                                        ; implicit-def: $sgpr4
	v_dual_cndmask_b32 v29, 0, v27 :: v_dual_cndmask_b32 v28, 56, v26
	v_cmpx_gt_u64_e32 8, v[26:27]
	s_xor_b32 s1, exec_lo, s1
	s_cbranch_execz .LBB1_286
; %bb.281:                              ;   in Loop: Header=BB1_280 Depth=1
	s_waitcnt vmcnt(0)
	v_mov_b32_e32 v2, 0
	v_mov_b32_e32 v3, 0
	s_mov_b64 s[4:5], 0
	s_mov_b32 s6, exec_lo
	v_cmpx_ne_u64_e32 0, v[26:27]
	s_cbranch_execz .LBB1_285
; %bb.282:                              ;   in Loop: Header=BB1_280 Depth=1
	v_lshlrev_b64 v[10:11], 3, v[28:29]
	v_mov_b32_e32 v2, 0
	v_dual_mov_b32 v3, 0 :: v_dual_mov_b32 v12, v5
	v_mov_b32_e32 v11, v4
	s_mov_b32 s7, 0
	.p2align	6
.LBB1_283:                              ;   Parent Loop BB1_280 Depth=1
                                        ; =>  This Inner Loop Header: Depth=2
	flat_load_u8 v6, v[11:12]
	v_mov_b32_e32 v14, s12
	v_add_co_u32 v11, vcc_lo, v11, 1
	v_add_co_ci_u32_e32 v12, vcc_lo, 0, v12, vcc_lo
	s_waitcnt vmcnt(0) lgkmcnt(0)
	v_and_b32_e32 v13, 0xffff, v6
	s_delay_alu instid0(VALU_DEP_1) | instskip(SKIP_3) | instid1(VALU_DEP_2)
	v_lshlrev_b64 v[13:14], s4, v[13:14]
	s_add_u32 s4, s4, 8
	s_addc_u32 s5, s5, 0
	v_cmp_eq_u32_e64 s0, s4, v10
	v_or_b32_e32 v3, v14, v3
	s_delay_alu instid0(VALU_DEP_3) | instskip(NEXT) | instid1(VALU_DEP_3)
	v_or_b32_e32 v2, v13, v2
	s_or_b32 s7, s0, s7
	s_delay_alu instid0(SALU_CYCLE_1)
	s_and_not1_b32 exec_lo, exec_lo, s7
	s_cbranch_execnz .LBB1_283
; %bb.284:                              ;   in Loop: Header=BB1_280 Depth=1
	s_or_b32 exec_lo, exec_lo, s7
.LBB1_285:                              ;   in Loop: Header=BB1_280 Depth=1
	s_delay_alu instid0(SALU_CYCLE_1)
	s_or_b32 exec_lo, exec_lo, s6
	s_mov_b32 s4, 0
.LBB1_286:                              ;   in Loop: Header=BB1_280 Depth=1
	s_or_saveexec_b32 s0, s1
	v_dual_mov_b32 v6, s4 :: v_dual_mov_b32 v23, v5
	v_mov_b32_e32 v22, v4
	s_xor_b32 exec_lo, exec_lo, s0
	s_cbranch_execz .LBB1_288
; %bb.287:                              ;   in Loop: Header=BB1_280 Depth=1
	s_waitcnt vmcnt(0)
	flat_load_b64 v[2:3], v[4:5]
	v_add_co_u32 v22, vcc_lo, v4, 8
	v_add_co_ci_u32_e32 v23, vcc_lo, 0, v5, vcc_lo
	s_waitcnt vmcnt(0) lgkmcnt(0)
	v_and_b32_e32 v6, 0xff, v3
	v_and_b32_e32 v10, 0xff00, v3
	;; [unrolled: 1-line block ×4, first 2 shown]
	v_or3_b32 v2, v2, 0, 0
	s_delay_alu instid0(VALU_DEP_4) | instskip(SKIP_1) | instid1(VALU_DEP_2)
	v_or_b32_e32 v10, v6, v10
	v_add_nc_u32_e32 v6, -8, v28
	v_or3_b32 v3, v10, v11, v3
.LBB1_288:                              ;   in Loop: Header=BB1_280 Depth=1
	s_or_b32 exec_lo, exec_lo, s0
                                        ; implicit-def: $vgpr10_vgpr11
                                        ; implicit-def: $sgpr1
	s_delay_alu instid0(SALU_CYCLE_1) | instskip(NEXT) | instid1(VALU_DEP_2)
	s_mov_b32 s0, exec_lo
	v_cmpx_gt_u32_e32 8, v6
	s_xor_b32 s6, exec_lo, s0
	s_cbranch_execz .LBB1_294
; %bb.289:                              ;   in Loop: Header=BB1_280 Depth=1
	v_mov_b32_e32 v10, 0
	v_mov_b32_e32 v11, 0
	s_mov_b32 s7, exec_lo
	v_cmpx_ne_u32_e32 0, v6
	s_cbranch_execz .LBB1_293
; %bb.290:                              ;   in Loop: Header=BB1_280 Depth=1
	v_mov_b32_e32 v10, 0
	v_mov_b32_e32 v11, 0
	s_mov_b64 s[0:1], 0
	s_mov_b32 s13, 0
	s_mov_b64 s[4:5], 0
	.p2align	6
.LBB1_291:                              ;   Parent Loop BB1_280 Depth=1
                                        ; =>  This Inner Loop Header: Depth=2
	s_delay_alu instid0(SALU_CYCLE_1)
	v_add_co_u32 v12, vcc_lo, v22, s4
	v_add_co_ci_u32_e32 v13, vcc_lo, s5, v23, vcc_lo
	s_add_u32 s4, s4, 1
	s_addc_u32 s5, s5, 0
	v_cmp_eq_u32_e32 vcc_lo, s4, v6
	flat_load_u8 v12, v[12:13]
	s_waitcnt vmcnt(0) lgkmcnt(0)
	v_dual_mov_b32 v13, s12 :: v_dual_and_b32 v12, 0xffff, v12
	s_delay_alu instid0(VALU_DEP_1) | instskip(SKIP_3) | instid1(VALU_DEP_1)
	v_lshlrev_b64 v[12:13], s0, v[12:13]
	s_add_u32 s0, s0, 8
	s_addc_u32 s1, s1, 0
	s_or_b32 s13, vcc_lo, s13
	v_or_b32_e32 v11, v13, v11
	s_delay_alu instid0(VALU_DEP_2)
	v_or_b32_e32 v10, v12, v10
	s_and_not1_b32 exec_lo, exec_lo, s13
	s_cbranch_execnz .LBB1_291
; %bb.292:                              ;   in Loop: Header=BB1_280 Depth=1
	s_or_b32 exec_lo, exec_lo, s13
.LBB1_293:                              ;   in Loop: Header=BB1_280 Depth=1
	s_delay_alu instid0(SALU_CYCLE_1)
	s_or_b32 exec_lo, exec_lo, s7
	s_mov_b32 s1, 0
                                        ; implicit-def: $vgpr6
.LBB1_294:                              ;   in Loop: Header=BB1_280 Depth=1
	s_or_saveexec_b32 s0, s6
	v_mov_b32_e32 v14, s1
	s_xor_b32 exec_lo, exec_lo, s0
	s_cbranch_execz .LBB1_296
; %bb.295:                              ;   in Loop: Header=BB1_280 Depth=1
	flat_load_b64 v[10:11], v[22:23]
	v_add_co_u32 v22, vcc_lo, v22, 8
	v_add_nc_u32_e32 v14, -8, v6
	v_add_co_ci_u32_e32 v23, vcc_lo, 0, v23, vcc_lo
	s_waitcnt vmcnt(0) lgkmcnt(0)
	v_and_b32_e32 v12, 0xff, v11
	v_and_b32_e32 v13, 0xff00, v11
	;; [unrolled: 1-line block ×4, first 2 shown]
	v_or3_b32 v10, v10, 0, 0
	s_delay_alu instid0(VALU_DEP_4) | instskip(NEXT) | instid1(VALU_DEP_1)
	v_or_b32_e32 v12, v12, v13
	v_or3_b32 v11, v12, v15, v11
.LBB1_296:                              ;   in Loop: Header=BB1_280 Depth=1
	s_or_b32 exec_lo, exec_lo, s0
                                        ; implicit-def: $sgpr1
	s_delay_alu instid0(SALU_CYCLE_1)
	s_mov_b32 s0, exec_lo
	v_cmpx_gt_u32_e32 8, v14
	s_xor_b32 s6, exec_lo, s0
	s_cbranch_execz .LBB1_302
; %bb.297:                              ;   in Loop: Header=BB1_280 Depth=1
	v_mov_b32_e32 v12, 0
	v_mov_b32_e32 v13, 0
	s_mov_b32 s7, exec_lo
	v_cmpx_ne_u32_e32 0, v14
	s_cbranch_execz .LBB1_301
; %bb.298:                              ;   in Loop: Header=BB1_280 Depth=1
	v_mov_b32_e32 v12, 0
	v_mov_b32_e32 v13, 0
	s_mov_b64 s[0:1], 0
	s_mov_b32 s13, 0
	s_mov_b64 s[4:5], 0
	.p2align	6
.LBB1_299:                              ;   Parent Loop BB1_280 Depth=1
                                        ; =>  This Inner Loop Header: Depth=2
	s_delay_alu instid0(SALU_CYCLE_1)
	v_add_co_u32 v15, vcc_lo, v22, s4
	v_add_co_ci_u32_e32 v16, vcc_lo, s5, v23, vcc_lo
	s_add_u32 s4, s4, 1
	s_addc_u32 s5, s5, 0
	v_cmp_eq_u32_e32 vcc_lo, s4, v14
	flat_load_u8 v6, v[15:16]
	s_waitcnt vmcnt(0) lgkmcnt(0)
	v_dual_mov_b32 v16, s12 :: v_dual_and_b32 v15, 0xffff, v6
	s_delay_alu instid0(VALU_DEP_1) | instskip(SKIP_3) | instid1(VALU_DEP_1)
	v_lshlrev_b64 v[15:16], s0, v[15:16]
	s_add_u32 s0, s0, 8
	s_addc_u32 s1, s1, 0
	s_or_b32 s13, vcc_lo, s13
	v_or_b32_e32 v13, v16, v13
	s_delay_alu instid0(VALU_DEP_2)
	v_or_b32_e32 v12, v15, v12
	s_and_not1_b32 exec_lo, exec_lo, s13
	s_cbranch_execnz .LBB1_299
; %bb.300:                              ;   in Loop: Header=BB1_280 Depth=1
	s_or_b32 exec_lo, exec_lo, s13
.LBB1_301:                              ;   in Loop: Header=BB1_280 Depth=1
	s_delay_alu instid0(SALU_CYCLE_1)
	s_or_b32 exec_lo, exec_lo, s7
	s_mov_b32 s1, 0
                                        ; implicit-def: $vgpr14
.LBB1_302:                              ;   in Loop: Header=BB1_280 Depth=1
	s_or_saveexec_b32 s0, s6
	v_mov_b32_e32 v6, s1
	s_xor_b32 exec_lo, exec_lo, s0
	s_cbranch_execz .LBB1_304
; %bb.303:                              ;   in Loop: Header=BB1_280 Depth=1
	flat_load_b64 v[12:13], v[22:23]
	v_add_co_u32 v22, vcc_lo, v22, 8
	v_add_co_ci_u32_e32 v23, vcc_lo, 0, v23, vcc_lo
	s_waitcnt vmcnt(0) lgkmcnt(0)
	v_and_b32_e32 v6, 0xff, v13
	v_and_b32_e32 v15, 0xff00, v13
	;; [unrolled: 1-line block ×4, first 2 shown]
	v_or3_b32 v12, v12, 0, 0
	s_delay_alu instid0(VALU_DEP_4) | instskip(SKIP_1) | instid1(VALU_DEP_2)
	v_or_b32_e32 v15, v6, v15
	v_add_nc_u32_e32 v6, -8, v14
	v_or3_b32 v13, v15, v16, v13
.LBB1_304:                              ;   in Loop: Header=BB1_280 Depth=1
	s_or_b32 exec_lo, exec_lo, s0
                                        ; implicit-def: $vgpr14_vgpr15
                                        ; implicit-def: $sgpr1
	s_delay_alu instid0(SALU_CYCLE_1) | instskip(NEXT) | instid1(VALU_DEP_1)
	s_mov_b32 s0, exec_lo
	v_cmpx_gt_u32_e32 8, v6
	s_xor_b32 s6, exec_lo, s0
	s_cbranch_execz .LBB1_310
; %bb.305:                              ;   in Loop: Header=BB1_280 Depth=1
	v_mov_b32_e32 v14, 0
	v_mov_b32_e32 v15, 0
	s_mov_b32 s7, exec_lo
	v_cmpx_ne_u32_e32 0, v6
	s_cbranch_execz .LBB1_309
; %bb.306:                              ;   in Loop: Header=BB1_280 Depth=1
	v_mov_b32_e32 v14, 0
	v_mov_b32_e32 v15, 0
	s_mov_b64 s[0:1], 0
	s_mov_b32 s13, 0
	s_mov_b64 s[4:5], 0
	.p2align	6
.LBB1_307:                              ;   Parent Loop BB1_280 Depth=1
                                        ; =>  This Inner Loop Header: Depth=2
	s_delay_alu instid0(SALU_CYCLE_1)
	v_add_co_u32 v16, vcc_lo, v22, s4
	v_add_co_ci_u32_e32 v17, vcc_lo, s5, v23, vcc_lo
	s_add_u32 s4, s4, 1
	s_addc_u32 s5, s5, 0
	v_cmp_eq_u32_e32 vcc_lo, s4, v6
	flat_load_u8 v16, v[16:17]
	s_waitcnt vmcnt(0) lgkmcnt(0)
	v_dual_mov_b32 v17, s12 :: v_dual_and_b32 v16, 0xffff, v16
	s_delay_alu instid0(VALU_DEP_1) | instskip(SKIP_3) | instid1(VALU_DEP_1)
	v_lshlrev_b64 v[16:17], s0, v[16:17]
	s_add_u32 s0, s0, 8
	s_addc_u32 s1, s1, 0
	s_or_b32 s13, vcc_lo, s13
	v_or_b32_e32 v15, v17, v15
	s_delay_alu instid0(VALU_DEP_2)
	v_or_b32_e32 v14, v16, v14
	s_and_not1_b32 exec_lo, exec_lo, s13
	s_cbranch_execnz .LBB1_307
; %bb.308:                              ;   in Loop: Header=BB1_280 Depth=1
	s_or_b32 exec_lo, exec_lo, s13
.LBB1_309:                              ;   in Loop: Header=BB1_280 Depth=1
	s_delay_alu instid0(SALU_CYCLE_1)
	s_or_b32 exec_lo, exec_lo, s7
	s_mov_b32 s1, 0
                                        ; implicit-def: $vgpr6
.LBB1_310:                              ;   in Loop: Header=BB1_280 Depth=1
	s_or_saveexec_b32 s0, s6
	v_mov_b32_e32 v18, s1
	s_xor_b32 exec_lo, exec_lo, s0
	s_cbranch_execz .LBB1_312
; %bb.311:                              ;   in Loop: Header=BB1_280 Depth=1
	flat_load_b64 v[14:15], v[22:23]
	v_add_co_u32 v22, vcc_lo, v22, 8
	v_add_nc_u32_e32 v18, -8, v6
	v_add_co_ci_u32_e32 v23, vcc_lo, 0, v23, vcc_lo
	s_waitcnt vmcnt(0) lgkmcnt(0)
	v_and_b32_e32 v16, 0xff, v15
	v_and_b32_e32 v17, 0xff00, v15
	;; [unrolled: 1-line block ×4, first 2 shown]
	v_or3_b32 v14, v14, 0, 0
	s_delay_alu instid0(VALU_DEP_4) | instskip(NEXT) | instid1(VALU_DEP_1)
	v_or_b32_e32 v16, v16, v17
	v_or3_b32 v15, v16, v19, v15
.LBB1_312:                              ;   in Loop: Header=BB1_280 Depth=1
	s_or_b32 exec_lo, exec_lo, s0
                                        ; implicit-def: $sgpr1
	s_delay_alu instid0(SALU_CYCLE_1)
	s_mov_b32 s0, exec_lo
	v_cmpx_gt_u32_e32 8, v18
	s_xor_b32 s6, exec_lo, s0
	s_cbranch_execz .LBB1_318
; %bb.313:                              ;   in Loop: Header=BB1_280 Depth=1
	v_mov_b32_e32 v16, 0
	v_mov_b32_e32 v17, 0
	s_mov_b32 s7, exec_lo
	v_cmpx_ne_u32_e32 0, v18
	s_cbranch_execz .LBB1_317
; %bb.314:                              ;   in Loop: Header=BB1_280 Depth=1
	v_mov_b32_e32 v16, 0
	v_mov_b32_e32 v17, 0
	s_mov_b64 s[0:1], 0
	s_mov_b32 s13, 0
	s_mov_b64 s[4:5], 0
	.p2align	6
.LBB1_315:                              ;   Parent Loop BB1_280 Depth=1
                                        ; =>  This Inner Loop Header: Depth=2
	s_delay_alu instid0(SALU_CYCLE_1)
	v_add_co_u32 v19, vcc_lo, v22, s4
	v_add_co_ci_u32_e32 v20, vcc_lo, s5, v23, vcc_lo
	s_add_u32 s4, s4, 1
	s_addc_u32 s5, s5, 0
	v_cmp_eq_u32_e32 vcc_lo, s4, v18
	flat_load_u8 v6, v[19:20]
	s_waitcnt vmcnt(0) lgkmcnt(0)
	v_dual_mov_b32 v20, s12 :: v_dual_and_b32 v19, 0xffff, v6
	s_delay_alu instid0(VALU_DEP_1) | instskip(SKIP_3) | instid1(VALU_DEP_1)
	v_lshlrev_b64 v[19:20], s0, v[19:20]
	s_add_u32 s0, s0, 8
	s_addc_u32 s1, s1, 0
	s_or_b32 s13, vcc_lo, s13
	v_or_b32_e32 v17, v20, v17
	s_delay_alu instid0(VALU_DEP_2)
	v_or_b32_e32 v16, v19, v16
	s_and_not1_b32 exec_lo, exec_lo, s13
	s_cbranch_execnz .LBB1_315
; %bb.316:                              ;   in Loop: Header=BB1_280 Depth=1
	s_or_b32 exec_lo, exec_lo, s13
.LBB1_317:                              ;   in Loop: Header=BB1_280 Depth=1
	s_delay_alu instid0(SALU_CYCLE_1)
	s_or_b32 exec_lo, exec_lo, s7
	s_mov_b32 s1, 0
                                        ; implicit-def: $vgpr18
.LBB1_318:                              ;   in Loop: Header=BB1_280 Depth=1
	s_or_saveexec_b32 s0, s6
	v_mov_b32_e32 v6, s1
	s_xor_b32 exec_lo, exec_lo, s0
	s_cbranch_execz .LBB1_320
; %bb.319:                              ;   in Loop: Header=BB1_280 Depth=1
	flat_load_b64 v[16:17], v[22:23]
	v_add_co_u32 v22, vcc_lo, v22, 8
	v_add_co_ci_u32_e32 v23, vcc_lo, 0, v23, vcc_lo
	s_waitcnt vmcnt(0) lgkmcnt(0)
	v_and_b32_e32 v6, 0xff, v17
	v_and_b32_e32 v19, 0xff00, v17
	v_and_b32_e32 v20, 0xff0000, v17
	v_and_b32_e32 v17, 0xff000000, v17
	v_or3_b32 v16, v16, 0, 0
	s_delay_alu instid0(VALU_DEP_4) | instskip(SKIP_1) | instid1(VALU_DEP_2)
	v_or_b32_e32 v19, v6, v19
	v_add_nc_u32_e32 v6, -8, v18
	v_or3_b32 v17, v19, v20, v17
.LBB1_320:                              ;   in Loop: Header=BB1_280 Depth=1
	s_or_b32 exec_lo, exec_lo, s0
                                        ; implicit-def: $vgpr18_vgpr19
                                        ; implicit-def: $sgpr1
	s_delay_alu instid0(SALU_CYCLE_1) | instskip(NEXT) | instid1(VALU_DEP_1)
	s_mov_b32 s0, exec_lo
	v_cmpx_gt_u32_e32 8, v6
	s_xor_b32 s6, exec_lo, s0
	s_cbranch_execz .LBB1_326
; %bb.321:                              ;   in Loop: Header=BB1_280 Depth=1
	v_mov_b32_e32 v18, 0
	v_mov_b32_e32 v19, 0
	s_mov_b32 s7, exec_lo
	v_cmpx_ne_u32_e32 0, v6
	s_cbranch_execz .LBB1_325
; %bb.322:                              ;   in Loop: Header=BB1_280 Depth=1
	v_mov_b32_e32 v18, 0
	v_mov_b32_e32 v19, 0
	s_mov_b64 s[0:1], 0
	s_mov_b32 s13, 0
	s_mov_b64 s[4:5], 0
	.p2align	6
.LBB1_323:                              ;   Parent Loop BB1_280 Depth=1
                                        ; =>  This Inner Loop Header: Depth=2
	s_delay_alu instid0(SALU_CYCLE_1)
	v_add_co_u32 v20, vcc_lo, v22, s4
	v_add_co_ci_u32_e32 v21, vcc_lo, s5, v23, vcc_lo
	s_add_u32 s4, s4, 1
	s_addc_u32 s5, s5, 0
	v_cmp_eq_u32_e32 vcc_lo, s4, v6
	flat_load_u8 v20, v[20:21]
	s_waitcnt vmcnt(0) lgkmcnt(0)
	v_dual_mov_b32 v21, s12 :: v_dual_and_b32 v20, 0xffff, v20
	s_delay_alu instid0(VALU_DEP_1) | instskip(SKIP_3) | instid1(VALU_DEP_1)
	v_lshlrev_b64 v[20:21], s0, v[20:21]
	s_add_u32 s0, s0, 8
	s_addc_u32 s1, s1, 0
	s_or_b32 s13, vcc_lo, s13
	v_or_b32_e32 v19, v21, v19
	s_delay_alu instid0(VALU_DEP_2)
	v_or_b32_e32 v18, v20, v18
	s_and_not1_b32 exec_lo, exec_lo, s13
	s_cbranch_execnz .LBB1_323
; %bb.324:                              ;   in Loop: Header=BB1_280 Depth=1
	s_or_b32 exec_lo, exec_lo, s13
.LBB1_325:                              ;   in Loop: Header=BB1_280 Depth=1
	s_delay_alu instid0(SALU_CYCLE_1)
	s_or_b32 exec_lo, exec_lo, s7
	s_mov_b32 s1, 0
                                        ; implicit-def: $vgpr6
.LBB1_326:                              ;   in Loop: Header=BB1_280 Depth=1
	s_or_saveexec_b32 s0, s6
	v_mov_b32_e32 v24, s1
	s_xor_b32 exec_lo, exec_lo, s0
	s_cbranch_execz .LBB1_328
; %bb.327:                              ;   in Loop: Header=BB1_280 Depth=1
	flat_load_b64 v[18:19], v[22:23]
	v_add_co_u32 v22, vcc_lo, v22, 8
	v_add_nc_u32_e32 v24, -8, v6
	v_add_co_ci_u32_e32 v23, vcc_lo, 0, v23, vcc_lo
	s_waitcnt vmcnt(0) lgkmcnt(0)
	v_and_b32_e32 v20, 0xff, v19
	v_and_b32_e32 v21, 0xff00, v19
	;; [unrolled: 1-line block ×4, first 2 shown]
	v_or3_b32 v18, v18, 0, 0
	s_delay_alu instid0(VALU_DEP_4) | instskip(NEXT) | instid1(VALU_DEP_1)
	v_or_b32_e32 v20, v20, v21
	v_or3_b32 v19, v20, v25, v19
.LBB1_328:                              ;   in Loop: Header=BB1_280 Depth=1
	s_or_b32 exec_lo, exec_lo, s0
	s_delay_alu instid0(SALU_CYCLE_1)
	s_mov_b32 s0, exec_lo
	v_cmpx_gt_u32_e32 8, v24
	s_xor_b32 s4, exec_lo, s0
	s_cbranch_execz .LBB1_334
; %bb.329:                              ;   in Loop: Header=BB1_280 Depth=1
	v_mov_b32_e32 v20, 0
	v_mov_b32_e32 v21, 0
	s_mov_b32 s5, exec_lo
	v_cmpx_ne_u32_e32 0, v24
	s_cbranch_execz .LBB1_333
; %bb.330:                              ;   in Loop: Header=BB1_280 Depth=1
	v_mov_b32_e32 v20, 0
	v_mov_b32_e32 v21, 0
	s_mov_b64 s[0:1], 0
	s_mov_b32 s6, 0
	.p2align	6
.LBB1_331:                              ;   Parent Loop BB1_280 Depth=1
                                        ; =>  This Inner Loop Header: Depth=2
	flat_load_u8 v6, v[22:23]
	v_dual_mov_b32 v31, s12 :: v_dual_add_nc_u32 v24, -1, v24
	v_add_co_u32 v22, vcc_lo, v22, 1
	v_add_co_ci_u32_e32 v23, vcc_lo, 0, v23, vcc_lo
	s_delay_alu instid0(VALU_DEP_3) | instskip(SKIP_2) | instid1(VALU_DEP_1)
	v_cmp_eq_u32_e32 vcc_lo, 0, v24
	s_waitcnt vmcnt(0) lgkmcnt(0)
	v_and_b32_e32 v30, 0xffff, v6
	v_lshlrev_b64 v[30:31], s0, v[30:31]
	s_add_u32 s0, s0, 8
	s_addc_u32 s1, s1, 0
	s_or_b32 s6, vcc_lo, s6
	s_delay_alu instid0(VALU_DEP_1) | instskip(NEXT) | instid1(VALU_DEP_2)
	v_or_b32_e32 v21, v31, v21
	v_or_b32_e32 v20, v30, v20
	s_and_not1_b32 exec_lo, exec_lo, s6
	s_cbranch_execnz .LBB1_331
; %bb.332:                              ;   in Loop: Header=BB1_280 Depth=1
	s_or_b32 exec_lo, exec_lo, s6
.LBB1_333:                              ;   in Loop: Header=BB1_280 Depth=1
	s_delay_alu instid0(SALU_CYCLE_1)
	s_or_b32 exec_lo, exec_lo, s5
                                        ; implicit-def: $vgpr22_vgpr23
.LBB1_334:                              ;   in Loop: Header=BB1_280 Depth=1
	s_and_not1_saveexec_b32 s0, s4
	s_cbranch_execz .LBB1_336
; %bb.335:                              ;   in Loop: Header=BB1_280 Depth=1
	flat_load_b64 v[20:21], v[22:23]
	s_waitcnt vmcnt(0) lgkmcnt(0)
	v_and_b32_e32 v6, 0xff, v21
	v_and_b32_e32 v22, 0xff00, v21
	;; [unrolled: 1-line block ×4, first 2 shown]
	v_or3_b32 v20, v20, 0, 0
	s_delay_alu instid0(VALU_DEP_4) | instskip(NEXT) | instid1(VALU_DEP_1)
	v_or_b32_e32 v6, v6, v22
	v_or3_b32 v21, v6, v23, v21
.LBB1_336:                              ;   in Loop: Header=BB1_280 Depth=1
	s_or_b32 exec_lo, exec_lo, s0
	v_readfirstlane_b32 s0, v35
	v_mov_b32_e32 v30, 0
	v_mov_b32_e32 v31, 0
	s_delay_alu instid0(VALU_DEP_3) | instskip(NEXT) | instid1(VALU_DEP_1)
	v_cmp_eq_u32_e64 s0, s0, v35
	s_and_saveexec_b32 s1, s0
	s_cbranch_execz .LBB1_342
; %bb.337:                              ;   in Loop: Header=BB1_280 Depth=1
	global_load_b64 v[24:25], v7, s[2:3] offset:24 glc
	s_waitcnt vmcnt(0)
	buffer_gl1_inv
	buffer_gl0_inv
	s_clause 0x1
	global_load_b64 v[22:23], v7, s[2:3] offset:40
	global_load_b64 v[30:31], v7, s[2:3]
	s_mov_b32 s4, exec_lo
	s_waitcnt vmcnt(1)
	v_and_b32_e32 v6, v23, v25
	v_and_b32_e32 v22, v22, v24
	s_delay_alu instid0(VALU_DEP_2) | instskip(NEXT) | instid1(VALU_DEP_2)
	v_mul_lo_u32 v6, v6, 24
	v_mul_hi_u32 v23, v22, 24
	v_mul_lo_u32 v22, v22, 24
	s_delay_alu instid0(VALU_DEP_2) | instskip(SKIP_1) | instid1(VALU_DEP_2)
	v_add_nc_u32_e32 v6, v23, v6
	s_waitcnt vmcnt(0)
	v_add_co_u32 v22, vcc_lo, v30, v22
	s_delay_alu instid0(VALU_DEP_2)
	v_add_co_ci_u32_e32 v23, vcc_lo, v31, v6, vcc_lo
	global_load_b64 v[22:23], v[22:23], off glc
	s_waitcnt vmcnt(0)
	global_atomic_cmpswap_b64 v[30:31], v7, v[22:25], s[2:3] offset:24 glc
	s_waitcnt vmcnt(0)
	buffer_gl1_inv
	buffer_gl0_inv
	v_cmpx_ne_u64_e64 v[30:31], v[24:25]
	s_cbranch_execz .LBB1_341
; %bb.338:                              ;   in Loop: Header=BB1_280 Depth=1
	s_mov_b32 s5, 0
	.p2align	6
.LBB1_339:                              ;   Parent Loop BB1_280 Depth=1
                                        ; =>  This Inner Loop Header: Depth=2
	s_sleep 1
	s_clause 0x1
	global_load_b64 v[22:23], v7, s[2:3] offset:40
	global_load_b64 v[36:37], v7, s[2:3]
	v_dual_mov_b32 v24, v30 :: v_dual_mov_b32 v25, v31
	s_waitcnt vmcnt(1)
	s_delay_alu instid0(VALU_DEP_1) | instskip(NEXT) | instid1(VALU_DEP_2)
	v_and_b32_e32 v6, v22, v24
	v_and_b32_e32 v33, v23, v25
	s_waitcnt vmcnt(0)
	s_delay_alu instid0(VALU_DEP_2) | instskip(NEXT) | instid1(VALU_DEP_1)
	v_mad_u64_u32 v[30:31], null, v6, 24, v[36:37]
	v_mov_b32_e32 v6, v31
	s_delay_alu instid0(VALU_DEP_1) | instskip(NEXT) | instid1(VALU_DEP_1)
	v_mad_u64_u32 v[22:23], null, v33, 24, v[6:7]
	v_mov_b32_e32 v31, v22
	global_load_b64 v[22:23], v[30:31], off glc
	s_waitcnt vmcnt(0)
	global_atomic_cmpswap_b64 v[30:31], v7, v[22:25], s[2:3] offset:24 glc
	s_waitcnt vmcnt(0)
	buffer_gl1_inv
	buffer_gl0_inv
	v_cmp_eq_u64_e32 vcc_lo, v[30:31], v[24:25]
	s_or_b32 s5, vcc_lo, s5
	s_delay_alu instid0(SALU_CYCLE_1)
	s_and_not1_b32 exec_lo, exec_lo, s5
	s_cbranch_execnz .LBB1_339
; %bb.340:                              ;   in Loop: Header=BB1_280 Depth=1
	s_or_b32 exec_lo, exec_lo, s5
.LBB1_341:                              ;   in Loop: Header=BB1_280 Depth=1
	s_delay_alu instid0(SALU_CYCLE_1)
	s_or_b32 exec_lo, exec_lo, s4
.LBB1_342:                              ;   in Loop: Header=BB1_280 Depth=1
	s_delay_alu instid0(SALU_CYCLE_1)
	s_or_b32 exec_lo, exec_lo, s1
	s_clause 0x1
	global_load_b64 v[36:37], v7, s[2:3] offset:40
	global_load_b128 v[22:25], v7, s[2:3]
	v_readfirstlane_b32 s4, v30
	v_readfirstlane_b32 s5, v31
	s_mov_b32 s1, exec_lo
	s_waitcnt vmcnt(1)
	v_readfirstlane_b32 s6, v36
	v_readfirstlane_b32 s7, v37
	s_delay_alu instid0(VALU_DEP_1) | instskip(NEXT) | instid1(SALU_CYCLE_1)
	s_and_b64 s[6:7], s[4:5], s[6:7]
	s_mul_i32 s13, s7, 24
	s_mul_hi_u32 s14, s6, 24
	s_mul_i32 s15, s6, 24
	s_add_i32 s14, s14, s13
	s_waitcnt vmcnt(0)
	v_add_co_u32 v30, vcc_lo, v22, s15
	v_add_co_ci_u32_e32 v31, vcc_lo, s14, v23, vcc_lo
	s_and_saveexec_b32 s13, s0
	s_cbranch_execz .LBB1_344
; %bb.343:                              ;   in Loop: Header=BB1_280 Depth=1
	v_mov_b32_e32 v6, s1
	global_store_b128 v[30:31], v[6:9], off offset:8
.LBB1_344:                              ;   in Loop: Header=BB1_280 Depth=1
	s_or_b32 exec_lo, exec_lo, s13
	v_cmp_lt_u64_e32 vcc_lo, 56, v[26:27]
	v_or_b32_e32 v6, 0, v1
	v_or_b32_e32 v33, v0, v32
	v_lshl_add_u32 v36, v28, 2, 28
	s_lshl_b64 s[6:7], s[6:7], 12
	s_delay_alu instid0(SALU_CYCLE_1) | instskip(NEXT) | instid1(VALU_DEP_1)
	v_add_co_u32 v24, s1, v24, s6
	v_add_co_ci_u32_e64 v25, s1, s7, v25, s1
	v_dual_cndmask_b32 v1, v6, v1 :: v_dual_cndmask_b32 v0, v33, v0
	v_and_b32_e32 v6, 0x1e0, v36
	s_delay_alu instid0(VALU_DEP_4) | instskip(NEXT) | instid1(VALU_DEP_4)
	v_readfirstlane_b32 s6, v24
	v_readfirstlane_b32 s7, v25
	s_delay_alu instid0(VALU_DEP_3)
	v_and_or_b32 v0, 0xffffff1f, v0, v6
	s_clause 0x3
	global_store_b128 v34, v[0:3], s[6:7]
	global_store_b128 v34, v[10:13], s[6:7] offset:16
	global_store_b128 v34, v[14:17], s[6:7] offset:32
	;; [unrolled: 1-line block ×3, first 2 shown]
	s_and_saveexec_b32 s1, s0
	s_cbranch_execz .LBB1_352
; %bb.345:                              ;   in Loop: Header=BB1_280 Depth=1
	s_clause 0x1
	global_load_b64 v[14:15], v7, s[2:3] offset:32 glc
	global_load_b64 v[0:1], v7, s[2:3] offset:40
	v_dual_mov_b32 v12, s4 :: v_dual_mov_b32 v13, s5
	s_waitcnt vmcnt(0)
	v_readfirstlane_b32 s6, v0
	v_readfirstlane_b32 s7, v1
	s_delay_alu instid0(VALU_DEP_1) | instskip(NEXT) | instid1(SALU_CYCLE_1)
	s_and_b64 s[6:7], s[6:7], s[4:5]
	s_mul_i32 s7, s7, 24
	s_mul_hi_u32 s13, s6, 24
	s_mul_i32 s6, s6, 24
	s_add_i32 s13, s13, s7
	v_add_co_u32 v10, vcc_lo, v22, s6
	v_add_co_ci_u32_e32 v11, vcc_lo, s13, v23, vcc_lo
	s_mov_b32 s6, exec_lo
	global_store_b64 v[10:11], v[14:15], off
	s_waitcnt_vscnt null, 0x0
	global_atomic_cmpswap_b64 v[2:3], v7, v[12:15], s[2:3] offset:32 glc
	s_waitcnt vmcnt(0)
	v_cmpx_ne_u64_e64 v[2:3], v[14:15]
	s_cbranch_execz .LBB1_348
; %bb.346:                              ;   in Loop: Header=BB1_280 Depth=1
	s_mov_b32 s7, 0
.LBB1_347:                              ;   Parent Loop BB1_280 Depth=1
                                        ; =>  This Inner Loop Header: Depth=2
	v_dual_mov_b32 v0, s4 :: v_dual_mov_b32 v1, s5
	s_sleep 1
	global_store_b64 v[10:11], v[2:3], off
	s_waitcnt_vscnt null, 0x0
	global_atomic_cmpswap_b64 v[0:1], v7, v[0:3], s[2:3] offset:32 glc
	s_waitcnt vmcnt(0)
	v_cmp_eq_u64_e32 vcc_lo, v[0:1], v[2:3]
	v_dual_mov_b32 v3, v1 :: v_dual_mov_b32 v2, v0
	s_or_b32 s7, vcc_lo, s7
	s_delay_alu instid0(SALU_CYCLE_1)
	s_and_not1_b32 exec_lo, exec_lo, s7
	s_cbranch_execnz .LBB1_347
.LBB1_348:                              ;   in Loop: Header=BB1_280 Depth=1
	s_or_b32 exec_lo, exec_lo, s6
	global_load_b64 v[0:1], v7, s[2:3] offset:16
	s_mov_b32 s7, exec_lo
	s_mov_b32 s6, exec_lo
	v_mbcnt_lo_u32_b32 v2, s7, 0
	s_delay_alu instid0(VALU_DEP_1)
	v_cmpx_eq_u32_e32 0, v2
	s_cbranch_execz .LBB1_350
; %bb.349:                              ;   in Loop: Header=BB1_280 Depth=1
	s_bcnt1_i32_b32 s7, s7
	s_delay_alu instid0(SALU_CYCLE_1)
	v_mov_b32_e32 v6, s7
	s_waitcnt vmcnt(0)
	global_atomic_add_u64 v[0:1], v[6:7], off offset:8
.LBB1_350:                              ;   in Loop: Header=BB1_280 Depth=1
	s_or_b32 exec_lo, exec_lo, s6
	s_waitcnt vmcnt(0)
	global_load_b64 v[2:3], v[0:1], off offset:16
	s_waitcnt vmcnt(0)
	v_cmp_eq_u64_e32 vcc_lo, 0, v[2:3]
	s_cbranch_vccnz .LBB1_352
; %bb.351:                              ;   in Loop: Header=BB1_280 Depth=1
	global_load_b32 v6, v[0:1], off offset:24
	s_waitcnt vmcnt(0)
	v_and_b32_e32 v0, 0xffffff, v6
	s_waitcnt_vscnt null, 0x0
	global_store_b64 v[2:3], v[6:7], off
	v_readfirstlane_b32 m0, v0
	s_sendmsg sendmsg(MSG_INTERRUPT)
.LBB1_352:                              ;   in Loop: Header=BB1_280 Depth=1
	s_or_b32 exec_lo, exec_lo, s1
	v_add_co_u32 v0, vcc_lo, v24, v34
	v_add_co_ci_u32_e32 v1, vcc_lo, 0, v25, vcc_lo
	s_branch .LBB1_356
	.p2align	6
.LBB1_353:                              ;   in Loop: Header=BB1_356 Depth=2
	s_or_b32 exec_lo, exec_lo, s1
	s_delay_alu instid0(VALU_DEP_1) | instskip(NEXT) | instid1(VALU_DEP_1)
	v_readfirstlane_b32 s1, v2
	s_cmp_eq_u32 s1, 0
	s_cbranch_scc1 .LBB1_355
; %bb.354:                              ;   in Loop: Header=BB1_356 Depth=2
	s_sleep 1
	s_cbranch_execnz .LBB1_356
	s_branch .LBB1_358
	.p2align	6
.LBB1_355:                              ;   in Loop: Header=BB1_280 Depth=1
	s_branch .LBB1_358
.LBB1_356:                              ;   Parent Loop BB1_280 Depth=1
                                        ; =>  This Inner Loop Header: Depth=2
	v_mov_b32_e32 v2, 1
	s_and_saveexec_b32 s1, s0
	s_cbranch_execz .LBB1_353
; %bb.357:                              ;   in Loop: Header=BB1_356 Depth=2
	global_load_b32 v2, v[30:31], off offset:20 glc
	s_waitcnt vmcnt(0)
	buffer_gl1_inv
	buffer_gl0_inv
	v_and_b32_e32 v2, 1, v2
	s_branch .LBB1_353
.LBB1_358:                              ;   in Loop: Header=BB1_280 Depth=1
	global_load_b128 v[0:3], v[0:1], off
	s_and_saveexec_b32 s1, s0
	s_cbranch_execz .LBB1_279
; %bb.359:                              ;   in Loop: Header=BB1_280 Depth=1
	s_clause 0x2
	global_load_b64 v[2:3], v7, s[2:3] offset:40
	global_load_b64 v[14:15], v7, s[2:3] offset:24 glc
	global_load_b64 v[12:13], v7, s[2:3]
	s_waitcnt vmcnt(2)
	v_add_co_u32 v6, vcc_lo, v2, 1
	v_add_co_ci_u32_e32 v16, vcc_lo, 0, v3, vcc_lo
	s_delay_alu instid0(VALU_DEP_2) | instskip(NEXT) | instid1(VALU_DEP_2)
	v_add_co_u32 v10, vcc_lo, v6, s4
	v_add_co_ci_u32_e32 v11, vcc_lo, s5, v16, vcc_lo
	s_delay_alu instid0(VALU_DEP_1) | instskip(SKIP_1) | instid1(VALU_DEP_1)
	v_cmp_eq_u64_e32 vcc_lo, 0, v[10:11]
	v_dual_cndmask_b32 v11, v11, v16 :: v_dual_cndmask_b32 v10, v10, v6
	v_and_b32_e32 v3, v11, v3
	s_delay_alu instid0(VALU_DEP_2) | instskip(NEXT) | instid1(VALU_DEP_1)
	v_and_b32_e32 v2, v10, v2
	v_mul_hi_u32 v6, v2, 24
	v_mul_lo_u32 v2, v2, 24
	s_waitcnt vmcnt(0)
	s_delay_alu instid0(VALU_DEP_1) | instskip(SKIP_2) | instid1(VALU_DEP_1)
	v_add_co_u32 v2, vcc_lo, v12, v2
	v_mov_b32_e32 v12, v14
	v_mul_lo_u32 v3, v3, 24
	v_add_nc_u32_e32 v3, v6, v3
	s_delay_alu instid0(VALU_DEP_1)
	v_add_co_ci_u32_e32 v3, vcc_lo, v13, v3, vcc_lo
	v_mov_b32_e32 v13, v15
	global_store_b64 v[2:3], v[14:15], off
	s_waitcnt_vscnt null, 0x0
	global_atomic_cmpswap_b64 v[12:13], v7, v[10:13], s[2:3] offset:24 glc
	s_waitcnt vmcnt(0)
	v_cmp_ne_u64_e32 vcc_lo, v[12:13], v[14:15]
	s_and_b32 exec_lo, exec_lo, vcc_lo
	s_cbranch_execz .LBB1_279
; %bb.360:                              ;   in Loop: Header=BB1_280 Depth=1
	s_mov_b32 s0, 0
.LBB1_361:                              ;   Parent Loop BB1_280 Depth=1
                                        ; =>  This Inner Loop Header: Depth=2
	s_sleep 1
	global_store_b64 v[2:3], v[12:13], off
	s_waitcnt_vscnt null, 0x0
	global_atomic_cmpswap_b64 v[14:15], v7, v[10:13], s[2:3] offset:24 glc
	s_waitcnt vmcnt(0)
	v_cmp_eq_u64_e32 vcc_lo, v[14:15], v[12:13]
	v_dual_mov_b32 v12, v14 :: v_dual_mov_b32 v13, v15
	s_or_b32 s0, vcc_lo, s0
	s_delay_alu instid0(SALU_CYCLE_1)
	s_and_not1_b32 exec_lo, exec_lo, s0
	s_cbranch_execnz .LBB1_361
	s_branch .LBB1_279
.LBB1_362:
	s_or_b32 exec_lo, exec_lo, s11
                                        ; implicit-def: $vgpr34
                                        ; implicit-def: $vgpr35
.LBB1_363:
	s_and_not1_saveexec_b32 s1, s10
	s_cbranch_execz .LBB1_391
; %bb.364:
	v_readfirstlane_b32 s0, v35
	v_mov_b32_e32 v8, 0
	v_mov_b32_e32 v9, 0
	s_delay_alu instid0(VALU_DEP_3) | instskip(NEXT) | instid1(VALU_DEP_1)
	v_cmp_eq_u32_e64 s0, s0, v35
	s_and_saveexec_b32 s4, s0
	s_cbranch_execz .LBB1_370
; %bb.365:
	s_waitcnt vmcnt(0)
	v_mov_b32_e32 v2, 0
	s_mov_b32 s5, exec_lo
	global_load_b64 v[5:6], v2, s[2:3] offset:24 glc
	s_waitcnt vmcnt(0)
	buffer_gl1_inv
	buffer_gl0_inv
	s_clause 0x1
	global_load_b64 v[3:4], v2, s[2:3] offset:40
	global_load_b64 v[7:8], v2, s[2:3]
	s_waitcnt vmcnt(1)
	v_and_b32_e32 v3, v3, v5
	v_and_b32_e32 v4, v4, v6
	s_delay_alu instid0(VALU_DEP_2) | instskip(NEXT) | instid1(VALU_DEP_2)
	v_mul_hi_u32 v9, v3, 24
	v_mul_lo_u32 v4, v4, 24
	v_mul_lo_u32 v3, v3, 24
	s_delay_alu instid0(VALU_DEP_2) | instskip(SKIP_1) | instid1(VALU_DEP_2)
	v_add_nc_u32_e32 v4, v9, v4
	s_waitcnt vmcnt(0)
	v_add_co_u32 v3, vcc_lo, v7, v3
	s_delay_alu instid0(VALU_DEP_2)
	v_add_co_ci_u32_e32 v4, vcc_lo, v8, v4, vcc_lo
	global_load_b64 v[3:4], v[3:4], off glc
	s_waitcnt vmcnt(0)
	global_atomic_cmpswap_b64 v[8:9], v2, v[3:6], s[2:3] offset:24 glc
	s_waitcnt vmcnt(0)
	buffer_gl1_inv
	buffer_gl0_inv
	v_cmpx_ne_u64_e64 v[8:9], v[5:6]
	s_cbranch_execz .LBB1_369
; %bb.366:
	s_mov_b32 s6, 0
	.p2align	6
.LBB1_367:                              ; =>This Inner Loop Header: Depth=1
	s_sleep 1
	s_clause 0x1
	global_load_b64 v[3:4], v2, s[2:3] offset:40
	global_load_b64 v[10:11], v2, s[2:3]
	v_dual_mov_b32 v5, v8 :: v_dual_mov_b32 v6, v9
	s_waitcnt vmcnt(1)
	s_delay_alu instid0(VALU_DEP_1) | instskip(NEXT) | instid1(VALU_DEP_2)
	v_and_b32_e32 v3, v3, v5
	v_and_b32_e32 v4, v4, v6
	s_waitcnt vmcnt(0)
	s_delay_alu instid0(VALU_DEP_2) | instskip(NEXT) | instid1(VALU_DEP_1)
	v_mad_u64_u32 v[7:8], null, v3, 24, v[10:11]
	v_mov_b32_e32 v3, v8
	s_delay_alu instid0(VALU_DEP_1)
	v_mad_u64_u32 v[8:9], null, v4, 24, v[3:4]
	global_load_b64 v[3:4], v[7:8], off glc
	s_waitcnt vmcnt(0)
	global_atomic_cmpswap_b64 v[8:9], v2, v[3:6], s[2:3] offset:24 glc
	s_waitcnt vmcnt(0)
	buffer_gl1_inv
	buffer_gl0_inv
	v_cmp_eq_u64_e32 vcc_lo, v[8:9], v[5:6]
	s_or_b32 s6, vcc_lo, s6
	s_delay_alu instid0(SALU_CYCLE_1)
	s_and_not1_b32 exec_lo, exec_lo, s6
	s_cbranch_execnz .LBB1_367
; %bb.368:
	s_or_b32 exec_lo, exec_lo, s6
.LBB1_369:
	s_delay_alu instid0(SALU_CYCLE_1)
	s_or_b32 exec_lo, exec_lo, s5
.LBB1_370:
	s_delay_alu instid0(SALU_CYCLE_1)
	s_or_b32 exec_lo, exec_lo, s4
	s_waitcnt vmcnt(0)
	v_mov_b32_e32 v2, 0
	v_readfirstlane_b32 s4, v8
	v_readfirstlane_b32 s5, v9
	s_mov_b32 s10, exec_lo
	s_clause 0x1
	global_load_b64 v[10:11], v2, s[2:3] offset:40
	global_load_b128 v[4:7], v2, s[2:3]
	s_waitcnt vmcnt(1)
	v_readfirstlane_b32 s6, v10
	v_readfirstlane_b32 s7, v11
	s_delay_alu instid0(VALU_DEP_1) | instskip(NEXT) | instid1(SALU_CYCLE_1)
	s_and_b64 s[6:7], s[4:5], s[6:7]
	s_mul_i32 s11, s7, 24
	s_mul_hi_u32 s12, s6, 24
	s_mul_i32 s13, s6, 24
	s_add_i32 s12, s12, s11
	s_waitcnt vmcnt(0)
	v_add_co_u32 v8, vcc_lo, v4, s13
	v_add_co_ci_u32_e32 v9, vcc_lo, s12, v5, vcc_lo
	s_and_saveexec_b32 s11, s0
	s_cbranch_execz .LBB1_372
; %bb.371:
	v_dual_mov_b32 v10, s10 :: v_dual_mov_b32 v11, v2
	v_dual_mov_b32 v12, 2 :: v_dual_mov_b32 v13, 1
	global_store_b128 v[8:9], v[10:13], off offset:8
.LBB1_372:
	s_or_b32 exec_lo, exec_lo, s11
	s_lshl_b64 s[6:7], s[6:7], 12
	s_mov_b32 s12, 0
	v_add_co_u32 v6, vcc_lo, v6, s6
	v_add_co_ci_u32_e32 v7, vcc_lo, s7, v7, vcc_lo
	s_mov_b32 s13, s12
	s_delay_alu instid0(VALU_DEP_2)
	v_readfirstlane_b32 s6, v6
	v_add_co_u32 v6, vcc_lo, v6, v34
	s_mov_b32 s14, s12
	s_mov_b32 s15, s12
	v_and_or_b32 v0, 0xffffff1f, v0, 32
	v_dual_mov_b32 v3, v2 :: v_dual_mov_b32 v10, s12
	v_readfirstlane_b32 s7, v7
	v_add_co_ci_u32_e32 v7, vcc_lo, 0, v7, vcc_lo
	v_dual_mov_b32 v11, s13 :: v_dual_mov_b32 v12, s14
	v_mov_b32_e32 v13, s15
	s_clause 0x3
	global_store_b128 v34, v[0:3], s[6:7]
	global_store_b128 v34, v[10:13], s[6:7] offset:16
	global_store_b128 v34, v[10:13], s[6:7] offset:32
	;; [unrolled: 1-line block ×3, first 2 shown]
	s_and_saveexec_b32 s6, s0
	s_cbranch_execz .LBB1_380
; %bb.373:
	v_dual_mov_b32 v10, 0 :: v_dual_mov_b32 v11, s4
	v_mov_b32_e32 v12, s5
	s_clause 0x1
	global_load_b64 v[13:14], v10, s[2:3] offset:32 glc
	global_load_b64 v[0:1], v10, s[2:3] offset:40
	s_waitcnt vmcnt(0)
	v_readfirstlane_b32 s10, v0
	v_readfirstlane_b32 s11, v1
	s_delay_alu instid0(VALU_DEP_1) | instskip(NEXT) | instid1(SALU_CYCLE_1)
	s_and_b64 s[10:11], s[10:11], s[4:5]
	s_mul_i32 s7, s11, 24
	s_mul_hi_u32 s11, s10, 24
	s_mul_i32 s10, s10, 24
	s_add_i32 s11, s11, s7
	v_add_co_u32 v4, vcc_lo, v4, s10
	v_add_co_ci_u32_e32 v5, vcc_lo, s11, v5, vcc_lo
	s_mov_b32 s7, exec_lo
	global_store_b64 v[4:5], v[13:14], off
	s_waitcnt_vscnt null, 0x0
	global_atomic_cmpswap_b64 v[2:3], v10, v[11:14], s[2:3] offset:32 glc
	s_waitcnt vmcnt(0)
	v_cmpx_ne_u64_e64 v[2:3], v[13:14]
	s_cbranch_execz .LBB1_376
; %bb.374:
	s_mov_b32 s10, 0
.LBB1_375:                              ; =>This Inner Loop Header: Depth=1
	v_dual_mov_b32 v0, s4 :: v_dual_mov_b32 v1, s5
	s_sleep 1
	global_store_b64 v[4:5], v[2:3], off
	s_waitcnt_vscnt null, 0x0
	global_atomic_cmpswap_b64 v[0:1], v10, v[0:3], s[2:3] offset:32 glc
	s_waitcnt vmcnt(0)
	v_cmp_eq_u64_e32 vcc_lo, v[0:1], v[2:3]
	v_dual_mov_b32 v3, v1 :: v_dual_mov_b32 v2, v0
	s_or_b32 s10, vcc_lo, s10
	s_delay_alu instid0(SALU_CYCLE_1)
	s_and_not1_b32 exec_lo, exec_lo, s10
	s_cbranch_execnz .LBB1_375
.LBB1_376:
	s_or_b32 exec_lo, exec_lo, s7
	v_mov_b32_e32 v3, 0
	s_mov_b32 s10, exec_lo
	s_mov_b32 s7, exec_lo
	v_mbcnt_lo_u32_b32 v2, s10, 0
	global_load_b64 v[0:1], v3, s[2:3] offset:16
	v_cmpx_eq_u32_e32 0, v2
	s_cbranch_execz .LBB1_378
; %bb.377:
	s_bcnt1_i32_b32 s10, s10
	s_delay_alu instid0(SALU_CYCLE_1)
	v_mov_b32_e32 v2, s10
	s_waitcnt vmcnt(0)
	global_atomic_add_u64 v[0:1], v[2:3], off offset:8
.LBB1_378:
	s_or_b32 exec_lo, exec_lo, s7
	s_waitcnt vmcnt(0)
	global_load_b64 v[2:3], v[0:1], off offset:16
	s_waitcnt vmcnt(0)
	v_cmp_eq_u64_e32 vcc_lo, 0, v[2:3]
	s_cbranch_vccnz .LBB1_380
; %bb.379:
	global_load_b32 v0, v[0:1], off offset:24
	s_waitcnt vmcnt(0)
	v_dual_mov_b32 v1, 0 :: v_dual_and_b32 v4, 0xffffff, v0
	s_waitcnt_vscnt null, 0x0
	global_store_b64 v[2:3], v[0:1], off
	v_readfirstlane_b32 m0, v4
	s_sendmsg sendmsg(MSG_INTERRUPT)
.LBB1_380:
	s_or_b32 exec_lo, exec_lo, s6
	s_branch .LBB1_384
	.p2align	6
.LBB1_381:                              ;   in Loop: Header=BB1_384 Depth=1
	s_or_b32 exec_lo, exec_lo, s6
	s_delay_alu instid0(VALU_DEP_1) | instskip(NEXT) | instid1(VALU_DEP_1)
	v_readfirstlane_b32 s6, v0
	s_cmp_eq_u32 s6, 0
	s_cbranch_scc1 .LBB1_383
; %bb.382:                              ;   in Loop: Header=BB1_384 Depth=1
	s_sleep 1
	s_cbranch_execnz .LBB1_384
	s_branch .LBB1_386
	.p2align	6
.LBB1_383:
	s_branch .LBB1_386
.LBB1_384:                              ; =>This Inner Loop Header: Depth=1
	v_mov_b32_e32 v0, 1
	s_and_saveexec_b32 s6, s0
	s_cbranch_execz .LBB1_381
; %bb.385:                              ;   in Loop: Header=BB1_384 Depth=1
	global_load_b32 v0, v[8:9], off offset:20 glc
	s_waitcnt vmcnt(0)
	buffer_gl1_inv
	buffer_gl0_inv
	v_and_b32_e32 v0, 1, v0
	s_branch .LBB1_381
.LBB1_386:
	global_load_b64 v[0:1], v[6:7], off
	s_and_saveexec_b32 s6, s0
	s_cbranch_execz .LBB1_390
; %bb.387:
	v_mov_b32_e32 v8, 0
	s_clause 0x2
	global_load_b64 v[4:5], v8, s[2:3] offset:40
	global_load_b64 v[9:10], v8, s[2:3] offset:24 glc
	global_load_b64 v[6:7], v8, s[2:3]
	s_waitcnt vmcnt(2)
	v_add_co_u32 v11, vcc_lo, v4, 1
	v_add_co_ci_u32_e32 v12, vcc_lo, 0, v5, vcc_lo
	s_delay_alu instid0(VALU_DEP_2) | instskip(NEXT) | instid1(VALU_DEP_2)
	v_add_co_u32 v2, vcc_lo, v11, s4
	v_add_co_ci_u32_e32 v3, vcc_lo, s5, v12, vcc_lo
	s_delay_alu instid0(VALU_DEP_1) | instskip(SKIP_1) | instid1(VALU_DEP_1)
	v_cmp_eq_u64_e32 vcc_lo, 0, v[2:3]
	v_dual_cndmask_b32 v3, v3, v12 :: v_dual_cndmask_b32 v2, v2, v11
	v_and_b32_e32 v5, v3, v5
	s_delay_alu instid0(VALU_DEP_2) | instskip(NEXT) | instid1(VALU_DEP_2)
	v_and_b32_e32 v4, v2, v4
	v_mul_lo_u32 v5, v5, 24
	s_delay_alu instid0(VALU_DEP_2) | instskip(SKIP_1) | instid1(VALU_DEP_2)
	v_mul_hi_u32 v11, v4, 24
	v_mul_lo_u32 v4, v4, 24
	v_add_nc_u32_e32 v5, v11, v5
	s_waitcnt vmcnt(0)
	s_delay_alu instid0(VALU_DEP_2) | instskip(SKIP_1) | instid1(VALU_DEP_3)
	v_add_co_u32 v6, vcc_lo, v6, v4
	v_mov_b32_e32 v4, v9
	v_add_co_ci_u32_e32 v7, vcc_lo, v7, v5, vcc_lo
	v_mov_b32_e32 v5, v10
	global_store_b64 v[6:7], v[9:10], off
	s_waitcnt_vscnt null, 0x0
	global_atomic_cmpswap_b64 v[4:5], v8, v[2:5], s[2:3] offset:24 glc
	s_waitcnt vmcnt(0)
	v_cmp_ne_u64_e32 vcc_lo, v[4:5], v[9:10]
	s_and_b32 exec_lo, exec_lo, vcc_lo
	s_cbranch_execz .LBB1_390
; %bb.388:
	s_mov_b32 s0, 0
.LBB1_389:                              ; =>This Inner Loop Header: Depth=1
	s_sleep 1
	global_store_b64 v[6:7], v[4:5], off
	s_waitcnt_vscnt null, 0x0
	global_atomic_cmpswap_b64 v[9:10], v8, v[2:5], s[2:3] offset:24 glc
	s_waitcnt vmcnt(0)
	v_cmp_eq_u64_e32 vcc_lo, v[9:10], v[4:5]
	v_dual_mov_b32 v4, v9 :: v_dual_mov_b32 v5, v10
	s_or_b32 s0, vcc_lo, s0
	s_delay_alu instid0(SALU_CYCLE_1)
	s_and_not1_b32 exec_lo, exec_lo, s0
	s_cbranch_execnz .LBB1_389
.LBB1_390:
	s_or_b32 exec_lo, exec_lo, s6
.LBB1_391:
	s_delay_alu instid0(SALU_CYCLE_1)
	s_or_b32 exec_lo, exec_lo, s1
	s_getpc_b64 s[0:1]
	s_add_u32 s0, s0, .str.1@rel32@lo+4
	s_addc_u32 s1, s1, .str.1@rel32@hi+12
	s_getpc_b64 s[2:3]
	s_add_u32 s2, s2, .str.1@rel32@lo+32
	s_addc_u32 s3, s3, .str.1@rel32@hi+40
	s_sub_i32 s4, s2, s0
	s_getpc_b64 s[2:3]
	s_add_u32 s2, s2, __ockl_fprintf_append_string_n@rel32@lo+4
	s_addc_u32 s3, s3, __ockl_fprintf_append_string_n@rel32@hi+12
	s_ashr_i32 s5, s4, 31
	s_waitcnt vmcnt(0)
	v_dual_mov_b32 v2, s0 :: v_dual_mov_b32 v3, s1
	v_dual_mov_b32 v4, s4 :: v_dual_mov_b32 v5, s5
	v_mov_b32_e32 v6, 1
	s_swappc_b64 s[30:31], s[2:3]
	s_trap 2
	s_sendmsg_rtn_b32 s0, sendmsg(MSG_RTN_GET_DOORBELL)
	s_mov_b32 ttmp2, m0
	s_waitcnt lgkmcnt(0)
	s_and_b32 s0, s0, 0x3ff
	s_delay_alu instid0(SALU_CYCLE_1) | instskip(NEXT) | instid1(SALU_CYCLE_1)
	s_bitset1_b32 s0, 10
	s_mov_b32 m0, s0
	s_sendmsg sendmsg(MSG_INTERRUPT)
	s_mov_b32 m0, ttmp2
.LBB1_392:                              ; =>This Inner Loop Header: Depth=1
	s_sethalt 5
	s_branch .LBB1_392
.Lfunc_end1:
	.size	__assert_fail, .Lfunc_end1-__assert_fail
                                        ; -- End function
	.section	.AMDGPU.csdata,"",@progbits
; Function info:
; codeLenInByte = 16148
; NumSgprs: 36
; NumVgprs: 41
; ScratchSize: 64
; MemoryBound: 0
	.text
	.p2align	2                               ; -- Begin function _ZN12_GLOBAL__N_17runRingId10FuncMinMaxIdE11ProtoSimpleILi2ELi2ELi0ELi1ELi0ELi0EELi0ELi0ELi1ELi0EEEviiP15ncclDevWorkColl
	.type	_ZN12_GLOBAL__N_17runRingId10FuncMinMaxIdE11ProtoSimpleILi2ELi2ELi0ELi1ELi0ELi0EELi0ELi0ELi1ELi0EEEviiP15ncclDevWorkColl,@function
_ZN12_GLOBAL__N_17runRingId10FuncMinMaxIdE11ProtoSimpleILi2ELi2ELi0ELi1ELi0ELi0EELi0ELi0ELi1ELi0EEEviiP15ncclDevWorkColl: ; @_ZN12_GLOBAL__N_17runRingId10FuncMinMaxIdE11ProtoSimpleILi2ELi2ELi0ELi1ELi0ELi0EELi0ELi0ELi1ELi0EEEviiP15ncclDevWorkColl
; %bb.0:
	s_waitcnt vmcnt(0) expcnt(0) lgkmcnt(0)
	s_mov_b32 s0, s33
	s_mov_b32 s33, s32
	s_or_saveexec_b32 s1, -1
	s_clause 0x1
	scratch_store_b32 off, v41, s33 offset:4
	; meta instruction
	scratch_store_b32 off, v42, s33 offset:8
	s_mov_b32 exec_lo, s1
	v_writelane_b32 v41, s0, 9
	s_add_i32 s32, s32, 16
	scratch_store_b32 off, v40, s33         ; 4-byte Folded Spill
	v_writelane_b32 v41, s34, 0
	v_writelane_b32 v41, s35, 1
	;; [unrolled: 1-line block ×9, first 2 shown]
	s_cbranch_execnz .LBB2_1419
; %bb.1:
	flat_load_b32 v7, v[2:3]
	ds_load_b32 v6, v0
	s_mov_b32 s0, exec_lo
                                        ; implicit-def: $vgpr32_vgpr33
                                        ; implicit-def: $vgpr14_vgpr15
                                        ; implicit-def: $vgpr4_vgpr5
	s_waitcnt lgkmcnt(0)
	v_readfirstlane_b32 s19, v6
	s_waitcnt vmcnt(0)
	v_and_b32_e32 v8, 0xff, v7
	s_delay_alu instid0(VALU_DEP_1)
	v_cmpx_ne_u32_e64 v8, v6
	s_xor_b32 s0, exec_lo, s0
	s_cbranch_execnz .LBB2_1421
; %bb.2:
	s_and_not1_saveexec_b32 s0, s0
	s_cbranch_execnz .LBB2_1426
.LBB2_3:
	s_or_b32 exec_lo, exec_lo, s0
	s_cbranch_execnz .LBB2_1427
.LBB2_4:
	ds_load_b64 v[6:7], v0
	s_mov_b32 s1, exec_lo
	s_waitcnt lgkmcnt(0)
	v_cmp_ne_u32_e32 vcc_lo, -1, v6
	v_cndmask_b32_e64 v36, 0, 1, vcc_lo
	v_cmp_ne_u32_e32 vcc_lo, -1, v7
	s_delay_alu instid0(VALU_DEP_2) | instskip(NEXT) | instid1(VALU_DEP_1)
	v_add_co_ci_u32_e64 v8, s0, 0, v36, vcc_lo
	v_lshlrev_b32_e32 v6, 1, v8
	s_delay_alu instid0(VALU_DEP_1)
	v_cmpx_le_i32_e64 v6, v1
	s_xor_b32 s18, exec_lo, s1
	s_cbranch_execz .LBB2_1672
; %bb.5:
	s_clause 0x3
	flat_load_b64 v[33:34], v[2:3] offset:104
	flat_load_b128 v[10:13], v[2:3] offset:16
	flat_load_u16 v7, v[2:3] offset:8
	flat_load_b32 v6, v[2:3] offset:4
	s_cbranch_execnz .LBB2_1429
; %bb.6:
	s_load_b32 s0, s[8:9], 0x0
	v_dual_mov_b32 v9, 0 :: v_dual_mov_b32 v30, 4
	s_waitcnt lgkmcnt(0)
	s_cmp_lt_u32 s12, s0
	s_cselect_b32 s0, 12, 18
	s_delay_alu instid0(SALU_CYCLE_1)
	s_add_u32 s0, s8, s0
	s_addc_u32 s1, s9, 0
	global_load_u16 v35, v9, s[0:1]
	ds_load_b32 v9, v0
	s_mov_b32 s1, exec_lo
	s_waitcnt lgkmcnt(0)
	v_readfirstlane_b32 s5, v9
	v_cmpx_ge_i32_e64 v0, v36
	s_cbranch_execz .LBB2_16
; %bb.7:
	v_cmp_le_u32_e64 s0, v8, v0
                                        ; implicit-def: $vgpr30
	s_delay_alu instid0(VALU_DEP_1) | instskip(NEXT) | instid1(SALU_CYCLE_1)
	s_and_saveexec_b32 s2, s0
	s_xor_b32 s0, exec_lo, s2
	s_cbranch_execz .LBB2_13
; %bb.8:
	v_cndmask_b32_e64 v9, 0, 1, vcc_lo
	s_mov_b32 s2, exec_lo
                                        ; implicit-def: $sgpr3
	s_delay_alu instid0(VALU_DEP_1) | instskip(NEXT) | instid1(VALU_DEP_1)
	v_sub_nc_u32_e32 v9, v1, v9
	v_cmpx_ge_u32_e64 v0, v9
	s_xor_b32 s2, exec_lo, s2
; %bb.9:
	s_mov_b32 s3, 16
                                        ; implicit-def: $vgpr8
; %bb.10:
	s_or_saveexec_b32 s2, s2
	v_mov_b32_e32 v30, s3
	s_xor_b32 exec_lo, exec_lo, s2
; %bb.11:
	v_sub_nc_u32_e32 v8, v1, v8
	s_delay_alu instid0(VALU_DEP_1) | instskip(SKIP_1) | instid1(VALU_DEP_1)
	v_cmp_ge_i32_e32 vcc_lo, v0, v8
	v_cndmask_b32_e64 v8, 0, 1, vcc_lo
	v_lshlrev_b32_e32 v30, 5, v8
; %bb.12:
	s_or_b32 exec_lo, exec_lo, s2
.LBB2_13:
	s_and_not1_saveexec_b32 s0, s0
; %bb.14:
	v_mov_b32_e32 v30, 8
; %bb.15:
	s_or_b32 exec_lo, exec_lo, s0
.LBB2_16:
	s_delay_alu instid0(SALU_CYCLE_1) | instskip(NEXT) | instid1(VALU_DEP_1)
	s_or_b32 exec_lo, exec_lo, s1
	v_and_b32_e32 v8, 36, v30
	s_delay_alu instid0(VALU_DEP_1)
	v_cmp_ne_u32_e32 vcc_lo, 0, v8
	v_mov_b32_e32 v8, -1
	s_and_saveexec_b32 s0, vcc_lo
	s_cbranch_execz .LBB2_19
; %bb.17:
	s_cbranch_execnz .LBB2_1431
; %bb.18:
	ds_load_b32 v8, v0
.LBB2_19:
	s_or_b32 exec_lo, exec_lo, s0
	v_and_b32_e32 v9, 24, v30
	s_mov_b32 s1, exec_lo
	s_delay_alu instid0(VALU_DEP_1)
	v_cmpx_ne_u32_e32 0, v9
	s_cbranch_execz .LBB2_22
; %bb.20:
	s_cbranch_execnz .LBB2_1433
; %bb.21:
	s_waitcnt lgkmcnt(0)
	ds_load_b32 v8, v0
.LBB2_22:
	s_or_b32 exec_lo, exec_lo, s1
	s_waitcnt vmcnt(1)
	v_lshrrev_b64 v[6:7], 31, v[6:7]
	v_mov_b32_e32 v18, 0
	v_mov_b32_e32 v19, 0
                                        ; implicit-def: $vgpr16_vgpr17
                                        ; implicit-def: $vgpr83
                                        ; implicit-def: $vgpr22_vgpr23
                                        ; implicit-def: $vgpr24_vgpr25
                                        ; implicit-def: $vgpr28_vgpr29
                                        ; implicit-def: $vgpr20_vgpr21
	s_delay_alu instid0(VALU_DEP_2) | instskip(NEXT) | instid1(VALU_DEP_2)
	v_dual_mov_b32 v6, v18 :: v_dual_and_b32 v37, 3, v6
	v_mov_b32_e32 v7, v19
	s_and_saveexec_b32 s0, vcc_lo
	s_cbranch_execz .LBB2_35
; %bb.23:
	s_cbranch_execnz .LBB2_1435
; %bb.24:
	ds_load_b64 v[6:7], v0
	s_waitcnt lgkmcnt(1)
	v_ashrrev_i32_e32 v9, 31, v8
	s_mov_b32 s1, exec_lo
	s_delay_alu instid0(VALU_DEP_1) | instskip(SKIP_2) | instid1(VALU_DEP_2)
	v_lshlrev_b64 v[16:17], 3, v[8:9]
	v_and_b32_e32 v9, 0xffff, v37
	s_waitcnt lgkmcnt(0)
	v_add_co_u32 v6, vcc_lo, v6, v16
	s_delay_alu instid0(VALU_DEP_3)
	v_add_co_ci_u32_e32 v7, vcc_lo, v7, v17, vcc_lo
	flat_load_b64 v[6:7], v[6:7]
	s_waitcnt vmcnt(0) lgkmcnt(0)
	v_mad_u64_u32 v[16:17], null, 0xa8, v9, v[6:7]
	flat_load_b32 v6, v[16:17] offset:640
	v_add_co_u32 v18, vcc_lo, 0x1f8, v16
	v_add_co_ci_u32_e32 v19, vcc_lo, 0, v17, vcc_lo
                                        ; implicit-def: $vgpr16_vgpr17
	s_waitcnt vmcnt(0) lgkmcnt(0)
	v_cmpx_eq_u32_e32 1, v6
	s_cbranch_execz .LBB2_27
; %bb.25:
	flat_load_b64 v[16:17], v[18:19] offset:144
	s_waitcnt vmcnt(0) lgkmcnt(0)
	flat_load_b64 v[6:7], v[16:17]
	s_cbranch_execnz .LBB2_1443
; %bb.26:
	s_waitcnt vmcnt(0) lgkmcnt(0)
	ds_store_b64 v0, v[6:7]
	flat_load_b64 v[6:7], v[16:17] offset:8
	v_or_b32_e32 v30, 0x2000, v30
	s_waitcnt vmcnt(0) lgkmcnt(0)
	ds_store_b64 v0, v[6:7]
	flat_load_b64 v[6:7], v[16:17] offset:16
	s_waitcnt vmcnt(0) lgkmcnt(0)
	ds_store_b64 v0, v[6:7]
.LBB2_27:
	s_or_b32 exec_lo, exec_lo, s1
	flat_load_b64 v[6:7], v[18:19] offset:104
	v_and_b32_e32 v9, 32, v30
	s_mov_b32 s1, exec_lo
                                        ; implicit-def: $vgpr20_vgpr21
	s_waitcnt vmcnt(0) lgkmcnt(0)
	v_add_co_u32 v6, vcc_lo, v6, 3
	v_add_co_ci_u32_e32 v23, vcc_lo, 0, v7, vcc_lo
	s_delay_alu instid0(VALU_DEP_2)
	v_and_b32_e32 v22, -4, v6
	v_cmpx_ne_u32_e32 0, v9
	s_cbranch_execz .LBB2_29
; %bb.28:
	flat_load_b64 v[20:21], v[18:19] offset:56
	s_waitcnt vmcnt(0) lgkmcnt(0)
	s_waitcnt_vscnt null, 0x0
	flat_store_b64 v[20:21], v[22:23]
.LBB2_29:
	s_or_b32 exec_lo, exec_lo, s1
	v_dual_mov_b32 v6, 0 :: v_dual_and_b32 v9, 4, v30
	v_mov_b32_e32 v7, 0
	s_mov_b32 s1, exec_lo
                                        ; implicit-def: $vgpr83
                                        ; implicit-def: $vgpr24_vgpr25
                                        ; implicit-def: $vgpr28_vgpr29
	s_delay_alu instid0(VALU_DEP_2)
	v_cmpx_ne_u32_e32 0, v9
	s_cbranch_execz .LBB2_34
; %bb.30:
	v_and_b32_e32 v6, 0x800, v30
	s_mov_b32 s2, exec_lo
	s_delay_alu instid0(VALU_DEP_1)
	v_cmpx_eq_u32_e32 0, v6
	s_cbranch_execz .LBB2_33
; %bb.31:
	s_cbranch_execnz .LBB2_1445
; %bb.32:
	ds_store_b64 v0, v[18:19]
.LBB2_33:
	s_or_b32 exec_lo, exec_lo, s2
	flat_load_b64 v[20:21], v[18:19] offset:48
	v_or_b32_e32 v26, 0x100, v30
	s_waitcnt vmcnt(0) lgkmcnt(0)
	flat_load_b64 v[28:29], v[20:21] glc
	s_clause 0x2
	flat_load_b32 v9, v[18:19] offset:72
	flat_load_b64 v[6:7], v[18:19] offset:96
	flat_load_b64 v[24:25], v[18:19] offset:16
	s_waitcnt vmcnt(2) lgkmcnt(2)
	v_ashrrev_i32_e32 v83, 3, v9
	s_waitcnt vmcnt(1) lgkmcnt(1)
	v_cmp_eq_u64_e32 vcc_lo, 0, v[6:7]
	v_cndmask_b32_e32 v30, v26, v30, vcc_lo
.LBB2_34:
	s_or_b32 exec_lo, exec_lo, s1
.LBB2_35:
	s_delay_alu instid0(SALU_CYCLE_1) | instskip(NEXT) | instid1(VALU_DEP_1)
	s_or_b32 exec_lo, exec_lo, s0
	v_and_b32_e32 v9, 24, v30
	s_mov_b32 s0, exec_lo
                                        ; implicit-def: $vgpr26_vgpr27
	s_delay_alu instid0(VALU_DEP_1)
	v_cmpx_ne_u32_e32 0, v9
	s_cbranch_execz .LBB2_45
; %bb.36:
	s_cbranch_execnz .LBB2_1437
; %bb.37:
	ds_load_b64 v[6:7], v0
	s_waitcnt lgkmcnt(1)
	v_ashrrev_i32_e32 v9, 31, v8
	v_or_b32_e32 v22, 0x100, v30
	s_mov_b32 s1, exec_lo
                                        ; implicit-def: $vgpr26_vgpr27
	s_delay_alu instid0(VALU_DEP_2) | instskip(SKIP_1) | instid1(VALU_DEP_1)
	v_lshlrev_b64 v[8:9], 3, v[8:9]
	s_waitcnt lgkmcnt(0)
	v_add_co_u32 v6, vcc_lo, v6, v8
	s_delay_alu instid0(VALU_DEP_2)
	v_add_co_ci_u32_e32 v7, vcc_lo, v7, v9, vcc_lo
	v_and_b32_e32 v8, 0xffff, v37
	flat_load_b64 v[6:7], v[6:7]
	s_waitcnt vmcnt(0) lgkmcnt(0)
	v_mad_u64_u32 v[18:19], null, 0xa8, v8, v[6:7]
	flat_load_b128 v[6:9], v[18:19] offset:96
	s_waitcnt vmcnt(0) lgkmcnt(0)
	v_cmp_eq_u64_e32 vcc_lo, 0, v[6:7]
	v_cndmask_b32_e32 v30, v22, v30, vcc_lo
	s_delay_alu instid0(VALU_DEP_1) | instskip(NEXT) | instid1(VALU_DEP_1)
	v_and_b32_e32 v22, 16, v30
	v_cmpx_ne_u32_e32 0, v22
; %bb.38:
	s_clause 0x2
	flat_load_b64 v[26:27], v[18:19] offset:120
	flat_load_b64 v[20:21], v[18:19] offset:48
	;; [unrolled: 1-line block ×3, first 2 shown]
; %bb.39:
	s_or_b32 exec_lo, exec_lo, s1
	v_and_b32_e32 v22, 8, v30
	s_mov_b32 s1, exec_lo
	s_delay_alu instid0(VALU_DEP_1)
	v_cmpx_ne_u32_e32 0, v22
	s_cbranch_execz .LBB2_44
; %bb.40:
	s_waitcnt vmcnt(1) lgkmcnt(1)
	v_and_b32_e32 v20, 0x800, v30
	s_mov_b32 s2, exec_lo
	s_delay_alu instid0(VALU_DEP_1)
	v_cmpx_eq_u32_e32 0, v20
	s_cbranch_execz .LBB2_43
; %bb.41:
	s_cbranch_execnz .LBB2_1447
; %bb.42:
	ds_store_b64 v0, v[18:19]
.LBB2_43:
	s_or_b32 exec_lo, exec_lo, s2
	flat_load_b64 v[20:21], v[18:19] offset:56
	s_waitcnt vmcnt(0) lgkmcnt(0)
	flat_load_b64 v[28:29], v[20:21] glc
	s_clause 0x1
	flat_load_b32 v22, v[18:19] offset:72
	flat_load_b64 v[24:25], v[18:19] offset:16
	s_waitcnt vmcnt(1) lgkmcnt(1)
	v_ashrrev_i32_e32 v83, 3, v22
.LBB2_44:
	s_or_b32 exec_lo, exec_lo, s1
	v_add_co_u32 v8, vcc_lo, v8, 3
	v_add_co_ci_u32_e32 v23, vcc_lo, 0, v9, vcc_lo
	s_delay_alu instid0(VALU_DEP_2)
	v_and_b32_e32 v22, -4, v8
.LBB2_45:
	s_or_b32 exec_lo, exec_lo, s0
	v_cmp_eq_u32_e64 s0, 0, v0
	s_delay_alu instid0(VALU_DEP_1)
	s_and_saveexec_b32 s1, s0
	s_cbranch_execz .LBB2_48
; %bb.46:
	s_waitcnt lgkmcnt(0)
	flat_load_b64 v[8:9], v[2:3] offset:32
	ds_store_2addr_b64 v0, v[12:13], v[10:11] offset1:1
	s_cbranch_execnz .LBB2_1439
; %bb.47:
	s_waitcnt vmcnt(0) lgkmcnt(1)
	ds_store_b64 v0, v[8:9]
	ds_store_b64 v0, v[33:34]
.LBB2_48:
	s_or_b32 exec_lo, exec_lo, s1
	v_mov_b32_e32 v12, 0
	s_waitcnt vmcnt(0)
	v_dual_mov_b32 v13, 0 :: v_dual_and_b32 v82, 0xffff, v35
	s_mov_b32 s2, exec_lo
	v_cmpx_lt_i64_e32 0, v[4:5]
	s_cbranch_execz .LBB2_1413
; %bb.49:
	s_waitcnt lgkmcnt(0)
	flat_load_b32 v8, v[2:3] offset:4
	v_dual_mov_b32 v3, 0 :: v_dual_and_b32 v2, 31, v31
	s_ashr_i32 s21, s19, 31
	s_add_u32 s22, s19, -1
	s_addc_u32 s23, s21, -1
	s_not_b32 s3, s19
	v_cmp_ge_i32_e32 vcc_lo, v0, v1
	v_cmp_eq_u32_e64 s1, 0, v2
	s_cmp_gt_i32 s19, 0
	s_cselect_b32 s6, s3, -1
	s_cbranch_execnz .LBB2_1441
; %bb.50:
	v_ashrrev_i32_e32 v9, 31, v0
	v_and_b32_e32 v2, 0x7ffffc0, v32
	v_lshrrev_b32_e32 v85, 5, v1
	s_ashr_i32 s7, s5, 31
                                        ; implicit-def: $vgpr42 : SGPR spill to VGPR lane
	s_add_i32 s24, s19, s19
	v_lshrrev_b32_e32 v9, 27, v9
	s_lshr_b32 s7, s7, 29
	v_lshlrev_b32_e32 v98, 8, v85
	s_add_i32 s5, s5, s7
	v_writelane_b32 v42, s2, 0
	v_add_nc_u32_e32 v9, v0, v9
	s_ashr_i32 s5, s5, 6
	v_add_nc_u32_e32 v102, 0xffffff00, v98
	s_waitcnt vmcnt(0) lgkmcnt(0)
	v_and_b32_e32 v8, 1, v8
	s_mov_b32 s2, 0
	v_and_b32_e32 v10, 0xffffffe0, v9
	s_add_i32 s26, s6, s24
	v_ashrrev_i32_e32 v113, 31, v102
	s_lshr_b32 s6, s5, 28
	v_writelane_b32 v42, s2, 1
	v_sub_nc_u32_e32 v87, v0, v10
	v_lshl_add_u32 v10, v85, 10, 0xfffffc00
	s_add_i32 s5, s5, s6
	s_ashr_i32 s27, s26, 31
	s_ashr_i32 s25, s5, 4
	v_cmp_lt_i32_e64 vcc_hi, v87, v36
	v_cmp_le_i32_e64 s30, v87, v36
	v_mov_b32_e32 v36, 0
	v_ashrrev_i32_e32 v86, 5, v9
	v_mov_b32_e32 v37, 0
	v_dual_mov_b32 v39, v3 :: v_dual_lshlrev_b32 v96, 9, v85
	s_delay_alu instid0(VALU_DEP_3) | instskip(NEXT) | instid1(VALU_DEP_3)
	v_dual_mov_b32 v12, v36 :: v_dual_lshlrev_b32 v9, 10, v86
	v_dual_mov_b32 v118, 1 :: v_dual_mov_b32 v13, v37
	s_delay_alu instid0(VALU_DEP_3) | instskip(NEXT) | instid1(VALU_DEP_3)
	v_dual_mov_b32 v38, v2 :: v_dual_add_nc_u32 v97, 0xfffffe00, v96
	v_lshl_add_u32 v34, v87, 4, v9
	v_ashrrev_i32_e32 v9, 31, v10
	v_add_co_u32 v99, s7, 0x400, v10
	s_delay_alu instid0(VALU_DEP_4) | instskip(SKIP_1) | instid1(VALU_DEP_3)
	v_ashrrev_i32_e32 v101, 31, v97
	s_cmp_gt_i32 s19, 2
	v_add_co_ci_u32_e64 v100, s7, 0, v9, s7
	v_add_co_u32 v103, s7, 0x200, v97
	s_delay_alu instid0(VALU_DEP_1) | instskip(SKIP_1) | instid1(VALU_DEP_1)
	v_add_co_ci_u32_e64 v112, s7, 0, v101, s7
	v_add_co_u32 v114, s7, 0x100, v102
	v_add_co_ci_u32_e64 v115, s7, 0, v113, s7
	v_cmp_eq_u32_e64 s7, 1, v8
	v_cmp_gt_i32_e64 s5, 1, v87
	s_cselect_b32 s29, -1, 0
	v_lshlrev_b32_e32 v0, 4, v0
	s_add_i32 s6, s19, 1
	v_writelane_b32 v42, s30, 2
	s_xor_b32 s10, s7, -1
	v_mad_i64_i32 v[32:33], null, v2, s19, 0
	s_cmp_le_i32 s19, s6
	v_cmp_eq_u64_e64 s36, 0, v[26:27]
	v_cmp_ne_u64_e64 s11, 0, v[26:27]
	s_cselect_b32 s12, s19, 0
	v_ashrrev_i32_e32 v84, 31, v83
	v_cmp_eq_u32_e64 s2, 32, v1
	v_cmp_ne_u32_e64 s3, 32, v1
	v_cmp_ne_u32_e64 s4, v82, v1
	v_ashrrev_i32_e32 v35, 31, v34
	v_sub_nc_u32_e32 v116, 0, v86
	v_ashrrev_i32_e32 v117, 31, v0
	v_writelane_b32 v42, s5, 3
	s_sub_i32 s14, s6, s12
	s_add_i32 s31, s19, -2
	s_ashr_i32 s35, s14, 31
	s_xor_b32 s34, vcc_lo, -1
	s_sub_i32 s13, 0, s19
	v_writelane_b32 v42, s10, 4
.LBB2_51:                               ; =>This Loop Header: Depth=1
                                        ;     Child Loop BB2_59 Depth 2
                                        ;       Child Loop BB2_68 Depth 3
                                        ;       Child Loop BB2_97 Depth 3
	;; [unrolled: 1-line block ×9, first 2 shown]
                                        ;     Child Loop BB2_225 Depth 2
                                        ;       Child Loop BB2_231 Depth 3
                                        ;       Child Loop BB2_260 Depth 3
	;; [unrolled: 1-line block ×3, first 2 shown]
                                        ;     Child Loop BB2_308 Depth 2
                                        ;       Child Loop BB2_310 Depth 3
                                        ;         Child Loop BB2_319 Depth 4
                                        ;         Child Loop BB2_351 Depth 4
	;; [unrolled: 1-line block ×9, first 2 shown]
                                        ;       Child Loop BB2_483 Depth 3
                                        ;         Child Loop BB2_489 Depth 4
                                        ;         Child Loop BB2_519 Depth 4
	;; [unrolled: 1-line block ×3, first 2 shown]
                                        ;     Child Loop BB2_568 Depth 2
                                        ;       Child Loop BB2_577 Depth 3
                                        ;       Child Loop BB2_607 Depth 3
	;; [unrolled: 1-line block ×4, first 2 shown]
                                        ;         Child Loop BB2_659 Depth 4
                                        ;       Child Loop BB2_666 Depth 3
                                        ;         Child Loop BB2_667 Depth 4
                                        ;       Child Loop BB2_679 Depth 3
	;; [unrolled: 2-line block ×4, first 2 shown]
                                        ;       Child Loop BB2_710 Depth 3
                                        ;       Child Loop BB2_721 Depth 3
	;; [unrolled: 1-line block ×5, first 2 shown]
                                        ;     Child Loop BB2_786 Depth 2
                                        ;       Child Loop BB2_792 Depth 3
                                        ;       Child Loop BB2_824 Depth 3
	;; [unrolled: 1-line block ×3, first 2 shown]
                                        ;     Child Loop BB2_872 Depth 2
                                        ;       Child Loop BB2_874 Depth 3
                                        ;         Child Loop BB2_883 Depth 4
                                        ;         Child Loop BB2_915 Depth 4
                                        ;         Child Loop BB2_938 Depth 4
                                        ;         Child Loop BB2_963 Depth 4
                                        ;           Child Loop BB2_964 Depth 5
                                        ;         Child Loop BB2_971 Depth 4
                                        ;           Child Loop BB2_972 Depth 5
                                        ;         Child Loop BB2_983 Depth 4
	;; [unrolled: 2-line block ×4, first 2 shown]
                                        ;         Child Loop BB2_1012 Depth 4
                                        ;         Child Loop BB2_1022 Depth 4
	;; [unrolled: 1-line block ×5, first 2 shown]
                                        ;       Child Loop BB2_1087 Depth 3
                                        ;         Child Loop BB2_1093 Depth 4
                                        ;         Child Loop BB2_1123 Depth 4
	;; [unrolled: 1-line block ×3, first 2 shown]
                                        ;     Child Loop BB2_1172 Depth 2
                                        ;       Child Loop BB2_1181 Depth 3
                                        ;       Child Loop BB2_1208 Depth 3
	;; [unrolled: 1-line block ×9, first 2 shown]
                                        ;     Child Loop BB2_1334 Depth 2
                                        ;       Child Loop BB2_1340 Depth 3
                                        ;       Child Loop BB2_1367 Depth 3
	;; [unrolled: 1-line block ×3, first 2 shown]
	v_sub_co_u32 v48, vcc_lo, v4, v36
	v_sub_co_ci_u32_e32 v49, vcc_lo, v5, v37, vcc_lo
	s_mov_b32 s12, exec_lo
	s_delay_alu instid0(VALU_DEP_1)
	v_cmpx_lt_i64_e64 v[48:49], v[32:33]
	s_cbranch_execz .LBB2_57
; %bb.52:                               ;   in Loop: Header=BB2_51 Depth=1
	v_add_co_u32 v2, vcc_lo, s22, v48
	v_add_co_ci_u32_e32 v10, vcc_lo, s23, v49, vcc_lo
	v_mov_b32_e32 v8, v3
	s_delay_alu instid0(VALU_DEP_2) | instskip(NEXT) | instid1(VALU_DEP_1)
	v_or_b32_e32 v9, s21, v10
	v_cmp_ne_u64_e32 vcc_lo, 0, v[8:9]
                                        ; implicit-def: $vgpr8_vgpr9
	s_and_saveexec_b32 s6, vcc_lo
	s_delay_alu instid0(SALU_CYCLE_1)
	s_xor_b32 s6, exec_lo, s6
	s_cbranch_execz .LBB2_54
; %bb.53:                               ;   in Loop: Header=BB2_51 Depth=1
	s_add_u32 s16, s19, s21
	s_mov_b32 s28, s24
	s_mov_b32 s24, s27
	;; [unrolled: 1-line block ×10, first 2 shown]
	s_addc_u32 s17, s21, s21
	s_mov_b32 s20, s13
	s_xor_b64 s[16:17], s[16:17], s[14:15]
	s_delay_alu instid0(SALU_CYCLE_1) | instskip(SKIP_3) | instid1(VALU_DEP_1)
	v_cvt_f32_u32_e32 v8, s16
	v_cvt_f32_u32_e32 v9, s17
	s_sub_u32 s13, 0, s16
	s_subb_u32 s37, 0, s17
	v_fmac_f32_e32 v8, 0x4f800000, v9
	s_delay_alu instid0(VALU_DEP_1) | instskip(SKIP_2) | instid1(VALU_DEP_1)
	v_rcp_f32_e32 v8, v8
	s_waitcnt_depctr 0xfff
	v_mul_f32_e32 v8, 0x5f7ffffc, v8
	v_mul_f32_e32 v9, 0x2f800000, v8
	s_delay_alu instid0(VALU_DEP_1) | instskip(NEXT) | instid1(VALU_DEP_1)
	v_trunc_f32_e32 v9, v9
	v_fmac_f32_e32 v8, 0xcf800000, v9
	v_cvt_u32_f32_e32 v9, v9
	s_delay_alu instid0(VALU_DEP_2) | instskip(NEXT) | instid1(VALU_DEP_2)
	v_cvt_u32_f32_e32 v8, v8
	v_mul_lo_u32 v11, s13, v9
	s_delay_alu instid0(VALU_DEP_2) | instskip(SKIP_1) | instid1(VALU_DEP_2)
	v_mul_hi_u32 v38, s13, v8
	v_mul_lo_u32 v39, s37, v8
	v_add_nc_u32_e32 v11, v38, v11
	v_mul_lo_u32 v38, s13, v8
	s_delay_alu instid0(VALU_DEP_2) | instskip(NEXT) | instid1(VALU_DEP_2)
	v_add_nc_u32_e32 v11, v11, v39
	v_mul_hi_u32 v39, v8, v38
	s_delay_alu instid0(VALU_DEP_2)
	v_mul_lo_u32 v50, v8, v11
	v_mul_hi_u32 v51, v8, v11
	v_mul_hi_u32 v52, v9, v38
	v_mul_lo_u32 v38, v9, v38
	v_mul_hi_u32 v53, v9, v11
	v_mul_lo_u32 v11, v9, v11
	v_add_co_u32 v39, vcc_lo, v39, v50
	v_add_co_ci_u32_e32 v50, vcc_lo, 0, v51, vcc_lo
	s_delay_alu instid0(VALU_DEP_2) | instskip(NEXT) | instid1(VALU_DEP_2)
	v_add_co_u32 v38, vcc_lo, v39, v38
	v_add_co_ci_u32_e32 v38, vcc_lo, v50, v52, vcc_lo
	v_add_co_ci_u32_e32 v39, vcc_lo, 0, v53, vcc_lo
	v_ashrrev_i32_e32 v52, 31, v10
	s_delay_alu instid0(VALU_DEP_3) | instskip(NEXT) | instid1(VALU_DEP_3)
	v_add_co_u32 v11, vcc_lo, v38, v11
	v_add_co_ci_u32_e32 v38, vcc_lo, 0, v39, vcc_lo
	s_delay_alu instid0(VALU_DEP_2) | instskip(NEXT) | instid1(VALU_DEP_2)
	v_add_co_u32 v8, vcc_lo, v8, v11
	v_add_co_ci_u32_e32 v9, vcc_lo, v9, v38, vcc_lo
	s_delay_alu instid0(VALU_DEP_2) | instskip(SKIP_1) | instid1(VALU_DEP_3)
	v_mul_hi_u32 v11, s13, v8
	v_mul_lo_u32 v39, s37, v8
	v_mul_lo_u32 v38, s13, v9
	s_delay_alu instid0(VALU_DEP_1) | instskip(SKIP_1) | instid1(VALU_DEP_2)
	v_add_nc_u32_e32 v11, v11, v38
	v_mul_lo_u32 v38, s13, v8
	v_add_nc_u32_e32 v11, v11, v39
	s_delay_alu instid0(VALU_DEP_2) | instskip(NEXT) | instid1(VALU_DEP_2)
	v_mul_hi_u32 v39, v8, v38
	v_mul_lo_u32 v50, v8, v11
	v_mul_hi_u32 v51, v8, v11
	v_mul_hi_u32 v53, v9, v38
	v_mul_lo_u32 v38, v9, v38
	v_mul_hi_u32 v54, v9, v11
	v_mul_lo_u32 v11, v9, v11
	v_add_co_u32 v39, vcc_lo, v39, v50
	v_add_co_ci_u32_e32 v50, vcc_lo, 0, v51, vcc_lo
	s_delay_alu instid0(VALU_DEP_2) | instskip(NEXT) | instid1(VALU_DEP_2)
	v_add_co_u32 v38, vcc_lo, v39, v38
	v_add_co_ci_u32_e32 v38, vcc_lo, v50, v53, vcc_lo
	v_add_co_ci_u32_e32 v39, vcc_lo, 0, v54, vcc_lo
	v_add_co_u32 v2, vcc_lo, v2, v52
	v_add_co_ci_u32_e32 v10, vcc_lo, v10, v52, vcc_lo
	s_delay_alu instid0(VALU_DEP_4) | instskip(NEXT) | instid1(VALU_DEP_4)
	v_add_co_u32 v11, vcc_lo, v38, v11
	v_add_co_ci_u32_e32 v38, vcc_lo, 0, v39, vcc_lo
	s_delay_alu instid0(VALU_DEP_4) | instskip(NEXT) | instid1(VALU_DEP_3)
	v_xor_b32_e32 v2, v2, v52
	v_add_co_u32 v39, vcc_lo, v8, v11
	s_delay_alu instid0(VALU_DEP_3) | instskip(SKIP_1) | instid1(VALU_DEP_3)
	v_add_co_ci_u32_e32 v50, vcc_lo, v9, v38, vcc_lo
	v_xor_b32_e32 v51, v10, v52
	v_mul_hi_u32 v53, v2, v39
	s_delay_alu instid0(VALU_DEP_3) | instskip(NEXT) | instid1(VALU_DEP_3)
	v_mad_u64_u32 v[8:9], null, v2, v50, 0
	v_mad_u64_u32 v[10:11], null, v51, v39, 0
	;; [unrolled: 1-line block ×3, first 2 shown]
	s_delay_alu instid0(VALU_DEP_3) | instskip(NEXT) | instid1(VALU_DEP_4)
	v_add_co_u32 v8, vcc_lo, v53, v8
	v_add_co_ci_u32_e32 v9, vcc_lo, 0, v9, vcc_lo
	s_delay_alu instid0(VALU_DEP_2) | instskip(NEXT) | instid1(VALU_DEP_2)
	v_add_co_u32 v8, vcc_lo, v8, v10
	v_add_co_ci_u32_e32 v8, vcc_lo, v9, v11, vcc_lo
	v_add_co_ci_u32_e32 v9, vcc_lo, 0, v39, vcc_lo
	s_delay_alu instid0(VALU_DEP_2) | instskip(NEXT) | instid1(VALU_DEP_2)
	v_add_co_u32 v10, vcc_lo, v8, v38
	v_add_co_ci_u32_e32 v11, vcc_lo, 0, v9, vcc_lo
	s_delay_alu instid0(VALU_DEP_2) | instskip(SKIP_1) | instid1(VALU_DEP_3)
	v_mul_lo_u32 v38, s17, v10
	v_mad_u64_u32 v[8:9], null, s16, v10, 0
	v_mul_lo_u32 v39, s16, v11
	s_delay_alu instid0(VALU_DEP_2) | instskip(NEXT) | instid1(VALU_DEP_2)
	v_sub_co_u32 v2, vcc_lo, v2, v8
	v_add3_u32 v9, v9, v39, v38
	s_delay_alu instid0(VALU_DEP_1) | instskip(NEXT) | instid1(VALU_DEP_1)
	v_sub_nc_u32_e32 v38, v51, v9
	v_subrev_co_ci_u32_e64 v8, s13, s17, v38, vcc_lo
	v_add_co_u32 v38, s13, v10, 2
	s_delay_alu instid0(VALU_DEP_1) | instskip(SKIP_3) | instid1(VALU_DEP_3)
	v_add_co_ci_u32_e64 v39, s13, 0, v11, s13
	v_sub_co_u32 v50, s13, v2, s16
	v_sub_co_ci_u32_e32 v9, vcc_lo, v51, v9, vcc_lo
	v_subrev_co_ci_u32_e64 v8, s13, 0, v8, s13
	v_cmp_le_u32_e32 vcc_lo, s16, v50
	s_delay_alu instid0(VALU_DEP_3) | instskip(SKIP_1) | instid1(VALU_DEP_4)
	v_cmp_eq_u32_e64 s13, s17, v9
	v_cndmask_b32_e64 v50, 0, -1, vcc_lo
	v_cmp_le_u32_e32 vcc_lo, s17, v8
	v_cndmask_b32_e64 v51, 0, -1, vcc_lo
	v_cmp_le_u32_e32 vcc_lo, s16, v2
	;; [unrolled: 2-line block ×3, first 2 shown]
	v_cndmask_b32_e64 v53, 0, -1, vcc_lo
	v_cmp_eq_u32_e32 vcc_lo, s17, v8
	s_delay_alu instid0(VALU_DEP_2) | instskip(SKIP_3) | instid1(VALU_DEP_3)
	v_cndmask_b32_e64 v2, v53, v2, s13
	v_cndmask_b32_e32 v8, v51, v50, vcc_lo
	v_add_co_u32 v50, vcc_lo, v10, 1
	v_add_co_ci_u32_e32 v51, vcc_lo, 0, v11, vcc_lo
	v_cmp_ne_u32_e32 vcc_lo, 0, v8
	s_mov_b32 s13, s20
	s_delay_alu instid0(VALU_DEP_2)
	v_dual_cndmask_b32 v8, v51, v39 :: v_dual_cndmask_b32 v9, v50, v38
	v_cmp_ne_u32_e32 vcc_lo, 0, v2
	v_xor_b32_e32 v2, s14, v52
	s_mov_b32 s14, s11
	s_mov_b32 s11, s2
	;; [unrolled: 1-line block ×3, first 2 shown]
	v_dual_cndmask_b32 v8, v11, v8 :: v_dual_cndmask_b32 v9, v10, v9
	v_xor_b32_e32 v10, s15, v52
	s_mov_b32 s29, s4
	s_mov_b32 s4, s3
	;; [unrolled: 1-line block ×3, first 2 shown]
	v_xor_b32_e32 v9, v9, v2
	v_xor_b32_e32 v11, v8, v10
	s_mov_b32 s27, s24
	s_mov_b32 s24, s28
	s_delay_alu instid0(VALU_DEP_2) | instskip(NEXT) | instid1(VALU_DEP_2)
	v_sub_co_u32 v8, vcc_lo, v9, v2
	v_sub_co_ci_u32_e32 v9, vcc_lo, v11, v10, vcc_lo
                                        ; implicit-def: $vgpr2
.LBB2_54:                               ;   in Loop: Header=BB2_51 Depth=1
	s_and_not1_saveexec_b32 s6, s6
	s_cbranch_execz .LBB2_56
; %bb.55:                               ;   in Loop: Header=BB2_51 Depth=1
	v_cvt_f32_u32_e32 v8, s19
	s_delay_alu instid0(VALU_DEP_1) | instskip(SKIP_2) | instid1(VALU_DEP_1)
	v_rcp_iflag_f32_e32 v8, v8
	s_waitcnt_depctr 0xfff
	v_mul_f32_e32 v8, 0x4f7ffffe, v8
	v_cvt_u32_f32_e32 v8, v8
	s_delay_alu instid0(VALU_DEP_1) | instskip(NEXT) | instid1(VALU_DEP_1)
	v_mul_lo_u32 v9, s13, v8
	v_mul_hi_u32 v9, v8, v9
	s_delay_alu instid0(VALU_DEP_1) | instskip(NEXT) | instid1(VALU_DEP_1)
	v_add_nc_u32_e32 v8, v8, v9
	v_mul_hi_u32 v8, v2, v8
	s_delay_alu instid0(VALU_DEP_1) | instskip(NEXT) | instid1(VALU_DEP_1)
	v_mul_lo_u32 v9, v8, s19
	v_sub_nc_u32_e32 v2, v2, v9
	s_delay_alu instid0(VALU_DEP_1) | instskip(SKIP_1) | instid1(VALU_DEP_2)
	v_subrev_nc_u32_e32 v10, s19, v2
	v_cmp_le_u32_e32 vcc_lo, s19, v2
	v_dual_cndmask_b32 v2, v2, v10 :: v_dual_add_nc_u32 v9, 1, v8
	s_delay_alu instid0(VALU_DEP_1) | instskip(NEXT) | instid1(VALU_DEP_2)
	v_cndmask_b32_e32 v8, v8, v9, vcc_lo
	v_cmp_le_u32_e32 vcc_lo, s19, v2
	s_delay_alu instid0(VALU_DEP_2) | instskip(NEXT) | instid1(VALU_DEP_1)
	v_add_nc_u32_e32 v9, 1, v8
	v_cndmask_b32_e32 v2, v8, v9, vcc_lo
	s_delay_alu instid0(VALU_DEP_1)
	v_dual_mov_b32 v9, v3 :: v_dual_mov_b32 v8, v2
.LBB2_56:                               ;   in Loop: Header=BB2_51 Depth=1
	s_or_b32 exec_lo, exec_lo, s6
	s_delay_alu instid0(VALU_DEP_1) | instskip(NEXT) | instid1(VALU_DEP_2)
	v_add_co_u32 v2, vcc_lo, v8, 1
	v_add_co_ci_u32_e32 v39, vcc_lo, 0, v9, vcc_lo
	s_delay_alu instid0(VALU_DEP_2)
	v_and_b32_e32 v38, -2, v2
.LBB2_57:                               ;   in Loop: Header=BB2_51 Depth=1
	s_or_b32 exec_lo, exec_lo, s12
	s_delay_alu instid0(VALU_DEP_2) | instskip(NEXT) | instid1(VALU_DEP_2)
	v_mul_lo_u32 v2, v39, s26
	v_mul_lo_u32 v8, v38, s27
	v_mad_u64_u32 v[52:53], null, v38, s26, 0
	v_mov_b32_e32 v10, 0
	s_mov_b32 s6, s36
	s_mov_b32 s16, 0
	s_delay_alu instid0(VALU_DEP_2) | instskip(NEXT) | instid1(VALU_DEP_3)
	v_add3_u32 v53, v53, v8, v2
	v_sub_co_u32 v8, vcc_lo, v48, v52
	s_delay_alu instid0(VALU_DEP_2) | instskip(NEXT) | instid1(VALU_DEP_1)
	v_sub_co_ci_u32_e32 v9, vcc_lo, v49, v53, vcc_lo
	v_cmp_lt_i64_e32 vcc_lo, v[38:39], v[8:9]
	v_cndmask_b32_e32 v8, v8, v38, vcc_lo
	v_add_co_u32 v50, vcc_lo, v36, v14
	v_add_co_ci_u32_e32 v51, vcc_lo, v37, v15, vcc_lo
	s_delay_alu instid0(VALU_DEP_3) | instskip(SKIP_1) | instid1(VALU_DEP_2)
	v_max_i32_e32 v68, 0, v8
	v_cmp_lt_i32_e32 vcc_lo, 0, v8
	v_add_nc_u32_e32 v2, 31, v68
	s_and_b32 s5, s34, vcc_lo
	s_delay_alu instid0(VALU_DEP_1) | instskip(NEXT) | instid1(VALU_DEP_1)
	v_lshrrev_b32_e32 v2, 1, v2
	v_dual_mov_b32 v2, 0 :: v_dual_and_b32 v9, 0x3ffffff0, v2
	s_delay_alu instid0(VALU_DEP_1)
	v_max_i32_e32 v8, s25, v9
	s_and_saveexec_b32 s15, s5
	s_cbranch_execz .LBB2_223
; %bb.58:                               ;   in Loop: Header=BB2_51 Depth=1
	v_lshlrev_b64 v[52:53], 3, v[52:53]
	v_mov_b32_e32 v10, 0
	s_mov_b32 s30, 1
	s_mov_b32 s17, -1
.LBB2_59:                               ;   Parent Loop BB2_51 Depth=1
                                        ; =>  This Loop Header: Depth=2
                                        ;       Child Loop BB2_68 Depth 3
                                        ;       Child Loop BB2_97 Depth 3
	;; [unrolled: 1-line block ×9, first 2 shown]
	s_and_saveexec_b32 s5, s0
	s_cbranch_execz .LBB2_62
; %bb.60:                               ;   in Loop: Header=BB2_59 Depth=2
	s_cbranch_execnz .LBB2_1464
; %bb.61:                               ;   in Loop: Header=BB2_59 Depth=2
	ds_load_b64 v[54:55], v0
	v_lshlrev_b64 v[64:65], 3, v[50:51]
	v_ashrrev_i32_e32 v11, 31, v10
	s_waitcnt lgkmcnt(0)
	s_delay_alu instid0(VALU_DEP_2) | instskip(NEXT) | instid1(VALU_DEP_3)
	v_add_co_u32 v2, vcc_lo, v54, v64
	v_add_co_ci_u32_e32 v9, vcc_lo, v55, v65, vcc_lo
	s_delay_alu instid0(VALU_DEP_3) | instskip(NEXT) | instid1(VALU_DEP_3)
	v_lshlrev_b64 v[54:55], 3, v[10:11]
	v_add_co_u32 v2, vcc_lo, v2, v52
	s_delay_alu instid0(VALU_DEP_3) | instskip(NEXT) | instid1(VALU_DEP_2)
	v_add_co_ci_u32_e32 v9, vcc_lo, v9, v53, vcc_lo
	v_add_co_u32 v54, vcc_lo, v2, v54
	s_delay_alu instid0(VALU_DEP_2)
	v_add_co_ci_u32_e32 v55, vcc_lo, v9, v55, vcc_lo
	v_mov_b32_e32 v2, v3
	ds_store_b64 v0, v[54:55]
	ds_store_b64 v0, v[2:3]
.LBB2_62:                               ;   in Loop: Header=BB2_59 Depth=2
	s_or_b32 exec_lo, exec_lo, s5
	v_and_b32_e32 v2, 8, v30
	s_mov_b32 s10, -1
	s_mov_b32 s5, exec_lo
	s_delay_alu instid0(VALU_DEP_1)
	v_cmpx_ne_u32_e32 0, v2
	s_cbranch_execz .LBB2_76
; %bb.63:                               ;   in Loop: Header=BB2_59 Depth=2
	v_add_co_u32 v64, vcc_lo, v28, 8
	v_add_co_ci_u32_e32 v65, vcc_lo, 0, v29, vcc_lo
	v_add_co_u32 v54, vcc_lo, v22, 2
	v_add_co_ci_u32_e32 v55, vcc_lo, 0, v23, vcc_lo
	v_mov_b32_e32 v2, 1
	s_mov_b32 s10, exec_lo
	s_delay_alu instid0(VALU_DEP_2)
	v_cmpx_lt_u64_e64 v[64:65], v[54:55]
	s_cbranch_execz .LBB2_75
; %bb.64:                               ;   in Loop: Header=BB2_59 Depth=2
	v_mov_b32_e32 v2, 0
	s_mov_b32 s12, 0
                                        ; implicit-def: $sgpr20
	s_branch .LBB2_68
.LBB2_65:                               ;   in Loop: Header=BB2_68 Depth=3
	s_or_b32 exec_lo, exec_lo, s38
	v_mov_b32_e32 v9, 0
	s_or_not1_b32 s37, s37, exec_lo
.LBB2_66:                               ;   in Loop: Header=BB2_68 Depth=3
	s_or_b32 exec_lo, exec_lo, s36
	s_delay_alu instid0(VALU_DEP_1) | instskip(SKIP_2) | instid1(SALU_CYCLE_1)
	v_mov_b32_e32 v2, v9
	s_and_not1_b32 s20, s20, exec_lo
	s_and_b32 vcc_lo, s37, exec_lo
	s_or_b32 s20, s20, vcc_lo
.LBB2_67:                               ;   in Loop: Header=BB2_68 Depth=3
	s_or_b32 exec_lo, exec_lo, s28
	s_waitcnt vmcnt(0) lgkmcnt(0)
	v_add_co_u32 v64, vcc_lo, v28, 8
	v_add_co_ci_u32_e32 v65, vcc_lo, 0, v29, vcc_lo
	s_xor_b32 s28, s20, -1
	s_delay_alu instid0(VALU_DEP_1) | instskip(SKIP_1) | instid1(SALU_CYCLE_1)
	v_cmp_ge_u64_e32 vcc_lo, v[64:65], v[54:55]
	s_or_b32 s28, s28, vcc_lo
	s_and_b32 s28, exec_lo, s28
	s_delay_alu instid0(SALU_CYCLE_1) | instskip(NEXT) | instid1(SALU_CYCLE_1)
	s_or_b32 s12, s28, s12
	s_and_not1_b32 exec_lo, exec_lo, s12
	s_cbranch_execz .LBB2_74
.LBB2_68:                               ;   Parent Loop BB2_51 Depth=1
                                        ;     Parent Loop BB2_59 Depth=2
                                        ; =>    This Inner Loop Header: Depth=3
	s_sleep 1
	flat_load_b64 v[28:29], v[20:21] glc
	v_and_b32_e32 v9, 64, v30
	s_and_not1_b32 s20, s20, exec_lo
	s_mov_b32 s28, exec_lo
	s_delay_alu instid0(VALU_DEP_1)
	v_cmpx_eq_u32_e32 0, v9
	s_cbranch_execz .LBB2_67
; %bb.69:                               ;   in Loop: Header=BB2_68 Depth=3
	v_add_nc_u32_e32 v9, 1, v2
	s_mov_b32 s37, -1
	s_mov_b32 s36, exec_lo
	v_cmpx_lt_i32_e32 0x270e, v2
	s_cbranch_execz .LBB2_66
; %bb.70:                               ;   in Loop: Header=BB2_68 Depth=3
	s_cbranch_execnz .LBB2_1486
; %bb.71:                               ;   in Loop: Header=BB2_68 Depth=3
	ds_load_b64 v[64:65], v0
	s_mov_b32 s38, exec_lo
	s_waitcnt vmcnt(0) lgkmcnt(0)
	s_waitcnt_vscnt null, 0x0
	flat_load_b32 v2, v[64:65] glc
	s_waitcnt vmcnt(0) lgkmcnt(0)
	buffer_gl1_inv
	buffer_gl0_inv
	v_cmpx_ne_u32_e32 0, v2
	s_cbranch_execz .LBB2_65
; %bb.72:                               ;   in Loop: Header=BB2_68 Depth=3
	ds_store_b32 v0, v2
	s_cbranch_execnz .LBB2_1505
; %bb.73:                               ;   in Loop: Header=BB2_68 Depth=3
	v_or_b32_e32 v30, 64, v30
	s_xor_b32 s37, exec_lo, -1
	s_branch .LBB2_65
.LBB2_74:                               ;   in Loop: Header=BB2_59 Depth=2
	s_or_b32 exec_lo, exec_lo, s12
	v_and_b32_e32 v2, 8, v30
.LBB2_75:                               ;   in Loop: Header=BB2_59 Depth=2
	s_or_b32 exec_lo, exec_lo, s10
	s_delay_alu instid0(VALU_DEP_1)
	v_cmp_eq_u32_e32 vcc_lo, 0, v2
	;;#ASMSTART
	s_wakeup
	;;#ASMEND
	s_or_not1_b32 s10, vcc_lo, exec_lo
.LBB2_76:                               ;   in Loop: Header=BB2_59 Depth=2
	s_or_b32 exec_lo, exec_lo, s5
	v_sub_nc_u32_e32 v2, v68, v10
	s_xor_b32 s10, s10, -1
	s_delay_alu instid0(VALU_DEP_1)
	v_min_i32_e32 v8, v8, v2
	s_and_saveexec_b32 s5, s10
	s_cbranch_execz .LBB2_84
; %bb.77:                               ;   in Loop: Header=BB2_59 Depth=2
	v_and_b32_e32 v2, 0x100, v30
	v_and_b32_e32 v54, 7, v22
	s_mov_b32 s12, 0
	s_mov_b32 s10, exec_lo
                                        ; implicit-def: $vgpr64_vgpr65
	s_delay_alu instid0(VALU_DEP_2)
	v_cmpx_ne_u32_e32 0, v2
	s_xor_b32 s10, exec_lo, s10
	s_cbranch_execnz .LBB2_92
; %bb.78:                               ;   in Loop: Header=BB2_59 Depth=2
	s_and_not1_saveexec_b32 s10, s10
	s_cbranch_execnz .LBB2_95
.LBB2_79:                               ;   in Loop: Header=BB2_59 Depth=2
	s_or_b32 exec_lo, exec_lo, s10
	s_and_saveexec_b32 s10, s12
.LBB2_80:                               ;   in Loop: Header=BB2_59 Depth=2
	v_mul_lo_u32 v2, v3, v83
	v_mul_lo_u32 v9, v54, v84
	v_mad_u64_u32 v[64:65], null, v54, v83, 0
	s_delay_alu instid0(VALU_DEP_1)
	v_add3_u32 v65, v65, v9, v2
.LBB2_81:                               ;   in Loop: Header=BB2_59 Depth=2
	s_or_b32 exec_lo, exec_lo, s10
	s_delay_alu instid0(VALU_DEP_1) | instskip(SKIP_2) | instid1(VALU_DEP_2)
	v_lshlrev_b64 v[54:55], 3, v[64:65]
	v_and_b32_e32 v2, 0x2000, v30
	s_mov_b32 s10, exec_lo
	v_add_co_u32 v54, vcc_lo, v24, v54
	s_delay_alu instid0(VALU_DEP_3)
	v_add_co_ci_u32_e32 v55, vcc_lo, v25, v55, vcc_lo
	ds_store_b64 v0, v[54:55] offset:784
	v_cmpx_ne_u32_e32 0, v2
	s_cbranch_execz .LBB2_83
; %bb.82:                               ;   in Loop: Header=BB2_59 Depth=2
	ds_load_b64 v[54:55], v0 offset:584
	s_waitcnt lgkmcnt(0)
	v_add_co_u32 v54, vcc_lo, v54, 1
	v_add_co_ci_u32_e32 v55, vcc_lo, 0, v55, vcc_lo
	ds_store_b64 v0, v[54:55] offset:584
.LBB2_83:                               ;   in Loop: Header=BB2_59 Depth=2
	s_or_b32 exec_lo, exec_lo, s10
	v_add_co_u32 v22, vcc_lo, v22, 2
	v_add_co_ci_u32_e32 v23, vcc_lo, 0, v23, vcc_lo
.LBB2_84:                               ;   in Loop: Header=BB2_59 Depth=2
	s_or_b32 exec_lo, exec_lo, s5
	s_and_saveexec_b32 s5, s3
	s_cbranch_execz .LBB2_110
; %bb.85:                               ;   in Loop: Header=BB2_59 Depth=2
	s_and_saveexec_b32 s10, s4
	s_delay_alu instid0(SALU_CYCLE_1)
	s_xor_b32 s10, exec_lo, s10
	s_cbranch_execz .LBB2_107
; %bb.86:                               ;   in Loop: Header=BB2_59 Depth=2
	s_and_saveexec_b32 s12, s1
	s_cbranch_execz .LBB2_106
; %bb.87:                               ;   in Loop: Header=BB2_59 Depth=2
	s_mov_b32 s20, exec_lo
	s_mov_b32 s36, exec_lo
	v_mbcnt_lo_u32_b32 v2, s20, 0
	s_waitcnt lgkmcnt(0)
	s_waitcnt_vscnt null, 0x0
	buffer_gl1_inv
	buffer_gl0_inv
	v_cmpx_eq_u32_e32 0, v2
	s_cbranch_execz .LBB2_89
; %bb.88:                               ;   in Loop: Header=BB2_59 Depth=2
	s_bcnt1_i32_b32 s20, s20
	s_delay_alu instid0(SALU_CYCLE_1)
	v_mov_b32_e32 v2, s20
	ds_add_u64 v0, v[2:3]
	s_cbranch_execnz .LBB2_1531
.LBB2_89:                               ;   in Loop: Header=BB2_59 Depth=2
	s_or_b32 exec_lo, exec_lo, s36
	s_cbranch_execnz .LBB2_1511
; %bb.90:                               ;   in Loop: Header=BB2_59 Depth=2
	ds_load_b64 v[54:55], v0
	v_add_co_u32 v12, vcc_lo, v12, v85
	v_add_co_ci_u32_e32 v13, vcc_lo, 0, v13, vcc_lo
	s_mov_b32 s20, s29
	s_mov_b32 s28, s34
	;; [unrolled: 1-line block ×3, first 2 shown]
	s_mov_b32 s31, exec_lo
	s_waitcnt lgkmcnt(0)
	v_cmpx_lt_u64_e64 v[54:55], v[12:13]
	s_cbranch_execz .LBB2_105
; %bb.91:                               ;   in Loop: Header=BB2_59 Depth=2
	s_mov_b32 s34, 0
	s_mov_b32 s38, 0
                                        ; implicit-def: $sgpr36
                                        ; implicit-def: $sgpr37
	s_branch .LBB2_97
.LBB2_92:                               ;   in Loop: Header=BB2_59 Depth=2
	v_mad_u64_u32 v[66:67], null, v54, 24, v[6:7]
	v_ashrrev_i32_e32 v9, 31, v8
	s_mov_b32 s12, -1
	s_mov_b32 s20, exec_lo
	s_delay_alu instid0(VALU_DEP_1)
	v_lshlrev_b64 v[64:65], 3, v[8:9]
	flat_load_b32 v2, v[66:67]
	flat_store_b64 v[66:67], v[64:65] offset:8
                                        ; implicit-def: $vgpr64_vgpr65
	s_waitcnt vmcnt(0) lgkmcnt(1)
	v_cmpx_eq_u32_e32 1, v2
	s_cbranch_execz .LBB2_94
; %bb.93:                               ;   in Loop: Header=BB2_59 Depth=2
	flat_load_b32 v54, v[66:67] offset:4 glc
	s_xor_b32 s12, exec_lo, -1
	s_waitcnt vmcnt(0) lgkmcnt(0)
	v_ashrrev_i32_e32 v55, 31, v54
	s_delay_alu instid0(VALU_DEP_1)
	v_lshrrev_b64 v[64:65], 3, v[54:55]
                                        ; implicit-def: $vgpr54_vgpr55
.LBB2_94:                               ;   in Loop: Header=BB2_59 Depth=2
	s_or_b32 exec_lo, exec_lo, s20
	s_delay_alu instid0(SALU_CYCLE_1)
	s_and_b32 s12, s12, exec_lo
	s_and_not1_saveexec_b32 s10, s10
	s_cbranch_execz .LBB2_79
.LBB2_95:                               ;   in Loop: Header=BB2_59 Depth=2
	s_or_b32 s12, s12, exec_lo
                                        ; implicit-def: $vgpr64_vgpr65
	s_or_b32 exec_lo, exec_lo, s10
	s_and_saveexec_b32 s10, s12
	s_cbranch_execnz .LBB2_80
	s_branch .LBB2_81
.LBB2_96:                               ;   in Loop: Header=BB2_97 Depth=3
	s_or_b32 exec_lo, exec_lo, s40
	s_delay_alu instid0(SALU_CYCLE_1) | instskip(NEXT) | instid1(SALU_CYCLE_1)
	s_and_b32 vcc_lo, exec_lo, vcc_lo
	s_or_b32 s34, vcc_lo, s34
	s_and_not1_b32 vcc_lo, s36, exec_lo
	s_and_b32 s36, s37, exec_lo
	s_delay_alu instid0(SALU_CYCLE_1)
	s_or_b32 s36, vcc_lo, s36
	s_and_not1_b32 exec_lo, exec_lo, s34
	s_cbranch_execz .LBB2_103
.LBB2_97:                               ;   Parent Loop BB2_51 Depth=1
                                        ;     Parent Loop BB2_59 Depth=2
                                        ; =>    This Inner Loop Header: Depth=3
	s_add_i32 s38, s38, 1
                                        ; implicit-def: $sgpr40
	s_delay_alu instid0(SALU_CYCLE_1) | instskip(SKIP_1) | instid1(SALU_CYCLE_1)
	s_cmpk_lg_i32 s38, 0x2710
	s_cselect_b32 s39, -1, 0
	s_and_b32 vcc_lo, exec_lo, s39
	s_cbranch_vccz .LBB2_101
.LBB2_98:                               ;   in Loop: Header=BB2_97 Depth=3
	s_and_not1_b32 s37, s37, exec_lo
	s_and_b32 s40, s40, exec_lo
	s_mov_b32 vcc_lo, -1
	s_or_b32 s37, s37, s40
	s_and_saveexec_b32 s40, s39
	s_cbranch_execz .LBB2_96
; %bb.99:                               ;   in Loop: Header=BB2_97 Depth=3
	s_sleep 1
	s_cbranch_execnz .LBB2_1559
; %bb.100:                              ;   in Loop: Header=BB2_97 Depth=3
	ds_load_b64 v[54:55], v0
	s_and_not1_b32 s37, s37, exec_lo
	s_waitcnt lgkmcnt(0)
	v_cmp_ge_u64_e32 vcc_lo, v[54:55], v[12:13]
	s_or_not1_b32 vcc_lo, vcc_lo, exec_lo
	s_branch .LBB2_96
.LBB2_101:                              ;   in Loop: Header=BB2_97 Depth=3
	s_cbranch_execnz .LBB2_1565
; %bb.102:                              ;   in Loop: Header=BB2_97 Depth=3
	ds_load_b64 v[54:55], v0
	s_and_not1_b32 s39, s39, exec_lo
	s_mov_b32 s38, 0
	s_mov_b32 s40, -1
	s_waitcnt lgkmcnt(0)
	flat_load_b32 v2, v[54:55] glc
	s_waitcnt vmcnt(0) lgkmcnt(0)
	buffer_gl1_inv
	buffer_gl0_inv
	v_cmp_eq_u32_e32 vcc_lo, 0, v2
	s_and_b32 vcc_lo, vcc_lo, exec_lo
	s_delay_alu instid0(SALU_CYCLE_1)
	s_or_b32 s39, s39, vcc_lo
	s_branch .LBB2_98
.LBB2_103:                              ;   in Loop: Header=BB2_59 Depth=2
	s_or_b32 exec_lo, exec_lo, s34
	s_and_saveexec_b32 vcc_lo, s36
	s_delay_alu instid0(SALU_CYCLE_1)
	s_xor_b32 vcc_lo, exec_lo, vcc_lo
	s_cbranch_execz .LBB2_105
; %bb.104:                              ;   in Loop: Header=BB2_59 Depth=2
	ds_store_b32 v0, v118
	s_cbranch_execnz .LBB2_1779
.LBB2_105:                              ;   in Loop: Header=BB2_59 Depth=2
	s_or_b32 exec_lo, exec_lo, s31
	s_mov_b32 s31, s29
	s_mov_b32 s34, s28
	;; [unrolled: 1-line block ×3, first 2 shown]
	;;#ASMSTART
	s_wakeup
	;;#ASMEND
.LBB2_106:                              ;   in Loop: Header=BB2_59 Depth=2
	s_or_b32 exec_lo, exec_lo, s12
.LBB2_107:                              ;   in Loop: Header=BB2_59 Depth=2
	s_and_not1_saveexec_b32 s10, s10
	s_cbranch_execz .LBB2_109
; %bb.108:                              ;   in Loop: Header=BB2_59 Depth=2
	s_waitcnt lgkmcnt(0)
	s_waitcnt_vscnt null, 0x0
	buffer_gl1_inv
	buffer_gl0_inv
	s_barrier
.LBB2_109:                              ;   in Loop: Header=BB2_59 Depth=2
	s_or_b32 exec_lo, exec_lo, s10
.LBB2_110:                              ;   in Loop: Header=BB2_59 Depth=2
	s_delay_alu instid0(SALU_CYCLE_1)
	s_or_b32 exec_lo, exec_lo, s5
	s_cbranch_execnz .LBB2_1462
; %bb.111:                              ;   in Loop: Header=BB2_59 Depth=2
	ds_load_b32 v11, v0
	v_and_b32_e32 v2, 0x4000, v30
	s_xor_b32 s5, s2, -1
	s_delay_alu instid0(VALU_DEP_1) | instskip(SKIP_1) | instid1(SALU_CYCLE_1)
	v_cmp_ne_u32_e32 vcc_lo, 0, v2
	s_and_b32 s10, s5, vcc_lo
	s_and_saveexec_b32 s5, s10
	s_cbranch_execz .LBB2_133
; %bb.112:                              ;   in Loop: Header=BB2_59 Depth=2
	s_and_saveexec_b32 s10, s4
	s_delay_alu instid0(SALU_CYCLE_1)
	s_xor_b32 s10, exec_lo, s10
	s_cbranch_execz .LBB2_130
; %bb.113:                              ;   in Loop: Header=BB2_59 Depth=2
	s_and_saveexec_b32 s12, s1
	s_cbranch_execz .LBB2_129
; %bb.114:                              ;   in Loop: Header=BB2_59 Depth=2
	s_mov_b32 s28, s34
	s_mov_b32 s34, exec_lo
	s_mov_b32 s20, s29
	v_mbcnt_lo_u32_b32 v2, s34, 0
	s_mov_b32 s29, s31
	s_mov_b32 s31, exec_lo
	s_waitcnt lgkmcnt(0)
	s_waitcnt_vscnt null, 0x0
	buffer_gl1_inv
	buffer_gl0_inv
	v_cmpx_eq_u32_e32 0, v2
	s_cbranch_execz .LBB2_116
; %bb.115:                              ;   in Loop: Header=BB2_59 Depth=2
	s_bcnt1_i32_b32 vcc_lo, s34
	s_delay_alu instid0(SALU_CYCLE_1)
	v_mov_b32_e32 v2, vcc_lo
	ds_add_u64 v0, v[2:3]
	s_cbranch_execnz .LBB2_1557
.LBB2_116:                              ;   in Loop: Header=BB2_59 Depth=2
	s_or_b32 exec_lo, exec_lo, s31
	s_cbranch_execnz .LBB2_1545
; %bb.117:                              ;   in Loop: Header=BB2_59 Depth=2
	ds_load_b64 v[54:55], v0
	v_add_co_u32 v12, vcc_lo, v12, v85
	v_add_co_ci_u32_e32 v13, vcc_lo, 0, v13, vcc_lo
	s_mov_b32 s31, exec_lo
	s_waitcnt lgkmcnt(0)
	s_delay_alu instid0(VALU_DEP_1)
	v_cmpx_lt_u64_e64 v[54:55], v[12:13]
	s_cbranch_execz .LBB2_128
; %bb.118:                              ;   in Loop: Header=BB2_59 Depth=2
	s_mov_b32 s34, 0
	s_mov_b32 s38, 0
                                        ; implicit-def: $sgpr36
                                        ; implicit-def: $sgpr37
	s_branch .LBB2_120
.LBB2_119:                              ;   in Loop: Header=BB2_120 Depth=3
	s_or_b32 exec_lo, exec_lo, s40
	s_delay_alu instid0(SALU_CYCLE_1) | instskip(NEXT) | instid1(SALU_CYCLE_1)
	s_and_b32 vcc_lo, exec_lo, vcc_lo
	s_or_b32 s34, vcc_lo, s34
	s_and_not1_b32 vcc_lo, s36, exec_lo
	s_and_b32 s36, s37, exec_lo
	s_delay_alu instid0(SALU_CYCLE_1)
	s_or_b32 s36, vcc_lo, s36
	s_and_not1_b32 exec_lo, exec_lo, s34
	s_cbranch_execz .LBB2_126
.LBB2_120:                              ;   Parent Loop BB2_51 Depth=1
                                        ;     Parent Loop BB2_59 Depth=2
                                        ; =>    This Inner Loop Header: Depth=3
	s_add_i32 s38, s38, 1
                                        ; implicit-def: $sgpr40
	s_delay_alu instid0(SALU_CYCLE_1) | instskip(SKIP_1) | instid1(SALU_CYCLE_1)
	s_cmpk_lg_i32 s38, 0x2710
	s_cselect_b32 s39, -1, 0
	s_and_b32 vcc_lo, exec_lo, s39
	s_cbranch_vccz .LBB2_124
.LBB2_121:                              ;   in Loop: Header=BB2_120 Depth=3
	s_and_not1_b32 s37, s37, exec_lo
	s_and_b32 s40, s40, exec_lo
	s_mov_b32 vcc_lo, -1
	s_or_b32 s37, s37, s40
	s_and_saveexec_b32 s40, s39
	s_cbranch_execz .LBB2_119
; %bb.122:                              ;   in Loop: Header=BB2_120 Depth=3
	s_sleep 1
	s_cbranch_execnz .LBB2_1599
; %bb.123:                              ;   in Loop: Header=BB2_120 Depth=3
	ds_load_b64 v[54:55], v0
	s_and_not1_b32 s37, s37, exec_lo
	s_waitcnt lgkmcnt(0)
	v_cmp_ge_u64_e32 vcc_lo, v[54:55], v[12:13]
	s_or_not1_b32 vcc_lo, vcc_lo, exec_lo
	s_branch .LBB2_119
.LBB2_124:                              ;   in Loop: Header=BB2_120 Depth=3
	s_cbranch_execnz .LBB2_1617
; %bb.125:                              ;   in Loop: Header=BB2_120 Depth=3
	ds_load_b64 v[54:55], v0
	s_and_not1_b32 s39, s39, exec_lo
	s_mov_b32 s38, 0
	s_mov_b32 s40, -1
	s_waitcnt lgkmcnt(0)
	flat_load_b32 v2, v[54:55] glc
	s_waitcnt vmcnt(0) lgkmcnt(0)
	buffer_gl1_inv
	buffer_gl0_inv
	v_cmp_eq_u32_e32 vcc_lo, 0, v2
	s_and_b32 vcc_lo, vcc_lo, exec_lo
	s_delay_alu instid0(SALU_CYCLE_1)
	s_or_b32 s39, s39, vcc_lo
	s_branch .LBB2_121
.LBB2_126:                              ;   in Loop: Header=BB2_59 Depth=2
	s_or_b32 exec_lo, exec_lo, s34
	s_and_saveexec_b32 vcc_lo, s36
	s_delay_alu instid0(SALU_CYCLE_1)
	s_xor_b32 vcc_lo, exec_lo, vcc_lo
	s_cbranch_execz .LBB2_128
; %bb.127:                              ;   in Loop: Header=BB2_59 Depth=2
	ds_store_b32 v0, v118
	s_cbranch_execnz .LBB2_1831
.LBB2_128:                              ;   in Loop: Header=BB2_59 Depth=2
	s_or_b32 exec_lo, exec_lo, s31
	s_mov_b32 s31, s29
	s_mov_b32 s34, s28
	;; [unrolled: 1-line block ×3, first 2 shown]
	;;#ASMSTART
	s_wakeup
	;;#ASMEND
.LBB2_129:                              ;   in Loop: Header=BB2_59 Depth=2
	s_or_b32 exec_lo, exec_lo, s12
.LBB2_130:                              ;   in Loop: Header=BB2_59 Depth=2
	s_and_not1_saveexec_b32 s10, s10
	s_cbranch_execz .LBB2_132
; %bb.131:                              ;   in Loop: Header=BB2_59 Depth=2
	s_waitcnt lgkmcnt(0)
	s_waitcnt_vscnt null, 0x0
	buffer_gl1_inv
	buffer_gl0_inv
	s_barrier
.LBB2_132:                              ;   in Loop: Header=BB2_59 Depth=2
	s_or_b32 exec_lo, exec_lo, s10
.LBB2_133:                              ;   in Loop: Header=BB2_59 Depth=2
	s_delay_alu instid0(SALU_CYCLE_1)
	s_or_b32 exec_lo, exec_lo, s5
	s_cbranch_execnz .LBB2_1488
; %bb.134:                              ;   in Loop: Header=BB2_59 Depth=2
	ds_load_b64 v[54:55], v0
	v_mov_b32_e32 v9, 0
	s_waitcnt lgkmcnt(0)
	v_cmp_eq_u64_e32 vcc_lo, 0, v[54:55]
	s_or_b32 s5, vcc_lo, vcc_lo
	s_delay_alu instid0(SALU_CYCLE_1)
	s_and_b32 vcc_lo, exec_lo, s5
	s_cbranch_vccnz .LBB2_169
; %bb.135:                              ;   in Loop: Header=BB2_59 Depth=2
	s_mov_b32 s5, s13
	s_mov_b32 s10, s34
	s_mov_b32 s12, s31
	s_mov_b32 s31, s14
	s_mov_b32 s13, -1
	s_mov_b32 s14, exec_lo
	v_readlane_b32 s20, v42, 3
	s_delay_alu instid0(VALU_DEP_1) | instskip(NEXT) | instid1(SALU_CYCLE_1)
	s_and_b32 s20, s14, s20
	s_mov_b32 exec_lo, s20
	s_cbranch_execz .LBB2_137
; %bb.136:                              ;   in Loop: Header=BB2_59 Depth=2
	ds_load_b32 v2, v0 offset:720
	s_waitcnt lgkmcnt(0)
	v_and_b32_e32 v2, 15, v2
	s_delay_alu instid0(VALU_DEP_1)
	v_cmp_eq_u32_e32 vcc_lo, 0, v2
	s_or_not1_b32 s13, vcc_lo, exec_lo
.LBB2_137:                              ;   in Loop: Header=BB2_59 Depth=2
	s_or_b32 exec_lo, exec_lo, s14
	s_and_saveexec_b32 s14, vcc_hi
	s_cbranch_execz .LBB2_139
; %bb.138:                              ;   in Loop: Header=BB2_59 Depth=2
	ds_load_b32 v2, v0 offset:784
	s_waitcnt lgkmcnt(0)
	v_and_b32_e32 v2, 15, v2
	s_delay_alu instid0(VALU_DEP_1) | instskip(SKIP_3) | instid1(SALU_CYCLE_1)
	v_cmp_eq_u32_e32 vcc_lo, 0, v2
	s_and_b32 s20, s13, vcc_lo
	s_and_not1_b32 s13, s13, exec_lo
	s_and_b32 s20, s20, exec_lo
	s_or_b32 s13, s13, s20
.LBB2_139:                              ;   in Loop: Header=BB2_59 Depth=2
	s_or_b32 exec_lo, exec_lo, s14
	v_cmp_eq_u32_e32 vcc_lo, 0, v11
	s_xor_b32 s13, s13, -1
	v_mov_b32_e32 v11, 0
	v_cndmask_b32_e64 v2, 0, 1, s13
	;;#ASMSTART
	;;#ASMEND
	v_cndmask_b32_e32 v9, 0, v8, vcc_lo
	s_delay_alu instid0(VALU_DEP_2) | instskip(SKIP_1) | instid1(VALU_DEP_2)
	v_cmp_ne_u32_e32 vcc_lo, 0, v2
	s_mov_b32 s13, -1
	v_lshlrev_b32_e32 v2, 3, v9
	s_cbranch_vccz .LBB2_141
; %bb.140:                              ;   in Loop: Header=BB2_59 Depth=2
	v_mov_b32_e32 v64, v87
	v_mov_b32_e32 v54, v86
	s_branch .LBB2_156
.LBB2_141:                              ;   in Loop: Header=BB2_59 Depth=2
	s_delay_alu instid0(VALU_DEP_1) | instskip(SKIP_1) | instid1(VALU_DEP_1)
	v_ashrrev_i32_e32 v11, 31, v2
	s_mov_b32 s14, exec_lo
	v_lshrrev_b32_e32 v11, 22, v11
	s_delay_alu instid0(VALU_DEP_1) | instskip(NEXT) | instid1(VALU_DEP_1)
	v_add_nc_u32_e32 v11, v2, v11
	v_ashrrev_i32_e32 v11, 10, v11
	s_delay_alu instid0(VALU_DEP_1) | instskip(NEXT) | instid1(VALU_DEP_1)
	v_sub_nc_u32_e32 v66, v11, v86
	v_cmpx_lt_i32_e32 0, v66
	s_cbranch_execz .LBB2_146
; %bb.142:                              ;   in Loop: Header=BB2_59 Depth=2
	s_cbranch_execnz .LBB2_1569
; %bb.143:                              ;   in Loop: Header=BB2_59 Depth=2
	ds_load_b64 v[54:55], v0
	v_dual_mov_b32 v65, v35 :: v_dual_mov_b32 v64, v34
	s_mov_b32 s20, 0
.LBB2_144:                              ;   Parent Loop BB2_51 Depth=1
                                        ;     Parent Loop BB2_59 Depth=2
                                        ; =>    This Inner Loop Header: Depth=3
	s_waitcnt lgkmcnt(0)
	s_delay_alu instid0(VALU_DEP_1) | instskip(NEXT) | instid1(VALU_DEP_2)
	v_add_co_u32 v69, vcc_lo, v54, v64
	v_add_co_ci_u32_e32 v70, vcc_lo, v55, v65, vcc_lo
	v_sub_nc_u32_e32 v66, v66, v85
	v_add_co_u32 v64, s13, v64, v99
	s_clause 0x1
	global_load_b128 v[128:131], v[69:70], off slc dlc
	global_load_b128 v[132:135], v[69:70], off offset:512 slc dlc
	v_add_co_ci_u32_e64 v65, s13, v65, v100, s13
	v_cmp_gt_i32_e32 vcc_lo, 1, v66
	s_waitcnt vmcnt(1)
	global_store_b128 v[69:70], v[128:131], off glc slc dlc
	s_waitcnt vmcnt(0)
	global_store_b128 v[69:70], v[132:135], off offset:512 glc slc dlc
	s_or_b32 s20, vcc_lo, s20
	s_delay_alu instid0(SALU_CYCLE_1)
	s_and_not1_b32 exec_lo, exec_lo, s20
	s_cbranch_execnz .LBB2_144
; %bb.145:                              ;   in Loop: Header=BB2_59 Depth=2
	s_or_b32 exec_lo, exec_lo, s20
.LBB2_146:                              ;   in Loop: Header=BB2_59 Depth=2
	s_delay_alu instid0(SALU_CYCLE_1) | instskip(SKIP_4) | instid1(VALU_DEP_2)
	s_or_b32 exec_lo, exec_lo, s14
	v_lshlrev_b32_e32 v65, 10, v11
	v_mov_b32_e32 v11, 0
	s_mov_b32 s13, 0
	s_mov_b32 s20, exec_lo
                                        ; implicit-def: $vgpr64
                                        ; implicit-def: $vgpr54
	v_cmpx_ne_u32_e64 v2, v65
	s_cbranch_execz .LBB2_155
; %bb.147:                              ;   in Loop: Header=BB2_59 Depth=2
	v_lshlrev_b32_e32 v11, 5, v66
	v_sub_nc_u32_e32 v55, v2, v65
	s_mov_b32 s28, exec_lo
	s_delay_alu instid0(VALU_DEP_2) | instskip(NEXT) | instid1(VALU_DEP_2)
	v_sub_nc_u32_e32 v11, v87, v11
	v_ashrrev_i32_e32 v64, 31, v55
	s_delay_alu instid0(VALU_DEP_2) | instskip(NEXT) | instid1(VALU_DEP_2)
	v_ashrrev_i32_e32 v54, 31, v11
	v_lshrrev_b32_e32 v64, 23, v64
	s_delay_alu instid0(VALU_DEP_2) | instskip(NEXT) | instid1(VALU_DEP_2)
	v_lshrrev_b32_e32 v54, 27, v54
	v_add_nc_u32_e32 v64, v55, v64
	s_delay_alu instid0(VALU_DEP_2) | instskip(NEXT) | instid1(VALU_DEP_2)
	v_add_nc_u32_e32 v54, v11, v54
	v_ashrrev_i32_e32 v70, 9, v64
	s_delay_alu instid0(VALU_DEP_2) | instskip(SKIP_1) | instid1(VALU_DEP_2)
	v_and_b32_e32 v66, 0xffffffe0, v54
	v_ashrrev_i32_e32 v54, 5, v54
	v_sub_nc_u32_e32 v67, v11, v66
	v_and_b32_e32 v66, 0xfffffe00, v64
	s_delay_alu instid0(VALU_DEP_2) | instskip(NEXT) | instid1(VALU_DEP_2)
	v_lshlrev_b32_e32 v11, 4, v67
	v_sub_nc_u32_e32 v69, v55, v66
	s_delay_alu instid0(VALU_DEP_2) | instskip(NEXT) | instid1(VALU_DEP_2)
	v_lshl_add_u32 v64, v54, 9, v11
	v_cmp_lt_i32_e32 vcc_lo, 15, v69
	s_delay_alu instid0(VALU_DEP_2) | instskip(SKIP_1) | instid1(VALU_DEP_1)
	v_sub_nc_u32_e32 v11, v55, v64
	v_add_co_ci_u32_e64 v70, s13, 0, v70, vcc_lo
	v_sub_nc_u32_e32 v70, v70, v54
	s_delay_alu instid0(VALU_DEP_3)
	v_cmpx_lt_i32_e32 15, v11
	s_cbranch_execz .LBB2_152
; %bb.148:                              ;   in Loop: Header=BB2_59 Depth=2
	s_cbranch_execnz .LBB2_1635
; %bb.149:                              ;   in Loop: Header=BB2_59 Depth=2
	ds_load_b64 v[54:55], v0
	v_add_nc_u32_e32 v64, v64, v65
	s_mov_b32 s34, 0
	s_delay_alu instid0(VALU_DEP_1)
	v_ashrrev_i32_e32 v71, 31, v64
.LBB2_150:                              ;   Parent Loop BB2_51 Depth=1
                                        ;     Parent Loop BB2_59 Depth=2
                                        ; =>    This Inner Loop Header: Depth=3
	s_waitcnt lgkmcnt(0)
	v_add_co_u32 v80, s13, v54, v64
	s_delay_alu instid0(VALU_DEP_1)
	v_add_co_ci_u32_e64 v81, s13, v55, v71, s13
	v_sub_nc_u32_e32 v11, v11, v96
	v_add_co_u32 v64, s14, v64, v103
	global_load_b128 v[128:131], v[80:81], off slc dlc
	v_sub_nc_u32_e32 v70, v70, v85
	v_cmp_gt_i32_e64 s13, 16, v11
	v_add_co_ci_u32_e64 v71, s14, v71, v112, s14
	s_delay_alu instid0(VALU_DEP_2)
	s_or_b32 s34, s13, s34
	s_waitcnt vmcnt(0)
	global_store_b128 v[80:81], v[128:131], off glc slc dlc
	s_and_not1_b32 exec_lo, exec_lo, s34
	s_cbranch_execnz .LBB2_150
; %bb.151:                              ;   in Loop: Header=BB2_59 Depth=2
	s_or_b32 exec_lo, exec_lo, s34
.LBB2_152:                              ;   in Loop: Header=BB2_59 Depth=2
	s_delay_alu instid0(SALU_CYCLE_1) | instskip(SKIP_3) | instid1(VALU_DEP_1)
	s_or_b32 exec_lo, exec_lo, s28
	v_and_b32_e32 v55, 8, v2
	s_mov_b32 s14, 0
	s_mov_b32 s28, exec_lo
                                        ; implicit-def: $vgpr64
                                        ; implicit-def: $vgpr54
	v_dual_mov_b32 v11, 0 :: v_dual_cndmask_b32 v2, v69, v55
	s_delay_alu instid0(VALU_DEP_1)
	v_cmpx_ne_u32_e32 0, v2
	s_cbranch_execz .LBB2_154
; %bb.153:                              ;   in Loop: Header=BB2_59 Depth=2
	v_cmp_lt_i32_e64 s13, 0, v70
	v_sub_nc_u32_e32 v54, v69, v55
	s_mov_b32 s14, exec_lo
	s_delay_alu instid0(VALU_DEP_2) | instskip(NEXT) | instid1(VALU_DEP_1)
	v_cndmask_b32_e64 v11, 0, v85, s13
	v_sub_nc_u32_e32 v11, v11, v70
	s_delay_alu instid0(VALU_DEP_1) | instskip(NEXT) | instid1(VALU_DEP_1)
	v_lshl_add_u32 v64, v11, 5, v67
	v_ashrrev_i32_e32 v11, 31, v64
	s_delay_alu instid0(VALU_DEP_1) | instskip(NEXT) | instid1(VALU_DEP_1)
	v_lshrrev_b32_e32 v11, 27, v11
	v_add_nc_u32_e32 v55, v64, v11
	v_cndmask_b32_e32 v11, 0, v54, vcc_lo
	s_delay_alu instid0(VALU_DEP_2) | instskip(NEXT) | instid1(VALU_DEP_2)
	v_and_b32_e32 v67, 0xffffffe0, v55
	v_add3_u32 v11, v66, v65, v11
	v_ashrrev_i32_e32 v54, 5, v55
	s_delay_alu instid0(VALU_DEP_3)
	v_sub_nc_u32_e32 v64, v64, v67
.LBB2_154:                              ;   in Loop: Header=BB2_59 Depth=2
	s_or_b32 exec_lo, exec_lo, s28
	s_delay_alu instid0(SALU_CYCLE_1)
	s_and_b32 s13, s14, exec_lo
.LBB2_155:                              ;   in Loop: Header=BB2_59 Depth=2
	s_or_b32 exec_lo, exec_lo, s20
.LBB2_156:                              ;   in Loop: Header=BB2_59 Depth=2
	s_and_saveexec_b32 s20, s13
	s_cbranch_execz .LBB2_168
; %bb.157:                              ;   in Loop: Header=BB2_59 Depth=2
	v_ashrrev_i32_e32 v55, 31, v2
	v_lshlrev_b32_e32 v66, 3, v64
	s_mov_b32 s28, exec_lo
	s_delay_alu instid0(VALU_DEP_2) | instskip(NEXT) | instid1(VALU_DEP_2)
	v_lshrrev_b32_e32 v55, 24, v55
	v_lshl_add_u32 v70, v54, 8, v66
	s_delay_alu instid0(VALU_DEP_2) | instskip(NEXT) | instid1(VALU_DEP_2)
	v_add_nc_u32_e32 v55, v2, v55
	v_sub_nc_u32_e32 v69, v2, v70
	s_delay_alu instid0(VALU_DEP_2) | instskip(SKIP_1) | instid1(VALU_DEP_2)
	v_and_b32_e32 v65, 0xffffff00, v55
	v_ashrrev_i32_e32 v55, 8, v55
	v_sub_nc_u32_e32 v66, v2, v65
	s_delay_alu instid0(VALU_DEP_2) | instskip(NEXT) | instid1(VALU_DEP_2)
	v_sub_nc_u32_e32 v54, v55, v54
	v_cmp_lt_i32_e32 vcc_lo, 7, v66
	s_delay_alu instid0(VALU_DEP_2)
	v_add_co_ci_u32_e64 v67, s13, 0, v54, vcc_lo
	v_cmpx_lt_i32_e32 7, v69
	s_cbranch_execz .LBB2_162
; %bb.158:                              ;   in Loop: Header=BB2_59 Depth=2
	s_cbranch_execnz .LBB2_1563
; %bb.159:                              ;   in Loop: Header=BB2_59 Depth=2
	ds_load_b64 v[54:55], v0
	v_add_nc_u32_e32 v70, v70, v11
	s_mov_b32 s34, 0
	s_delay_alu instid0(VALU_DEP_1)
	v_ashrrev_i32_e32 v71, 31, v70
.LBB2_160:                              ;   Parent Loop BB2_51 Depth=1
                                        ;     Parent Loop BB2_59 Depth=2
                                        ; =>    This Inner Loop Header: Depth=3
	s_waitcnt lgkmcnt(0)
	v_add_co_u32 v80, s13, v54, v70
	s_delay_alu instid0(VALU_DEP_1)
	v_add_co_ci_u32_e64 v81, s13, v55, v71, s13
	v_sub_nc_u32_e32 v69, v69, v98
	v_add_co_u32 v70, s14, v70, v114
	flat_load_b64 v[128:129], v[80:81] slc dlc
	v_sub_nc_u32_e32 v67, v67, v85
	v_cmp_gt_i32_e64 s13, 8, v69
	v_add_co_ci_u32_e64 v71, s14, v71, v115, s14
	s_delay_alu instid0(VALU_DEP_2)
	s_or_b32 s34, s13, s34
	s_waitcnt vmcnt(0) lgkmcnt(0)
	flat_store_b64 v[80:81], v[128:129] glc slc dlc
	s_and_not1_b32 exec_lo, exec_lo, s34
	s_cbranch_execnz .LBB2_160
; %bb.161:                              ;   in Loop: Header=BB2_59 Depth=2
	s_or_b32 exec_lo, exec_lo, s34
.LBB2_162:                              ;   in Loop: Header=BB2_59 Depth=2
	s_delay_alu instid0(SALU_CYCLE_1) | instskip(SKIP_2) | instid1(VALU_DEP_1)
	s_or_b32 exec_lo, exec_lo, s28
	v_and_b32_e32 v54, 7, v2
	s_mov_b32 s14, exec_lo
	v_cndmask_b32_e32 v2, v66, v54, vcc_lo
	s_delay_alu instid0(VALU_DEP_1)
	v_cmpx_ne_u32_e32 0, v2
	s_cbranch_execz .LBB2_167
; %bb.163:                              ;   in Loop: Header=BB2_59 Depth=2
	v_cmp_lt_i32_e64 s13, 0, v67
	s_delay_alu instid0(VALU_DEP_1) | instskip(NEXT) | instid1(VALU_DEP_1)
	v_cndmask_b32_e64 v55, 0, v85, s13
	v_sub_nc_u32_e32 v55, v55, v67
	s_delay_alu instid0(VALU_DEP_1) | instskip(NEXT) | instid1(VALU_DEP_1)
	v_lshl_add_u32 v55, v55, 5, v64
	v_ashrrev_i32_e32 v64, 31, v55
	s_delay_alu instid0(VALU_DEP_1) | instskip(NEXT) | instid1(VALU_DEP_1)
	v_lshrrev_b32_e32 v64, 27, v64
	v_add_nc_u32_e32 v64, v55, v64
	s_delay_alu instid0(VALU_DEP_1) | instskip(SKIP_1) | instid1(VALU_DEP_2)
	v_and_b32_e32 v67, 0x1fffffe0, v64
	v_lshlrev_b32_e32 v64, 3, v64
	v_sub_nc_u32_e32 v55, v55, v67
	s_delay_alu instid0(VALU_DEP_2) | instskip(NEXT) | instid1(VALU_DEP_1)
	v_and_b32_e32 v64, 0xffffff00, v64
	v_lshl_add_u32 v64, v55, 3, v64
	s_delay_alu instid0(VALU_DEP_1) | instskip(NEXT) | instid1(VALU_DEP_1)
	v_sub_nc_u32_e32 v2, v2, v64
	v_cmp_lt_i32_e64 s13, 7, v2
	s_delay_alu instid0(VALU_DEP_1)
	s_and_b32 exec_lo, exec_lo, s13
	s_cbranch_execz .LBB2_167
; %bb.164:                              ;   in Loop: Header=BB2_59 Depth=2
	s_cbranch_execnz .LBB2_1627
; %bb.165:                              ;   in Loop: Header=BB2_59 Depth=2
	v_sub_nc_u32_e32 v66, v66, v54
	ds_load_b64 v[54:55], v0
	v_add_nc_u32_e32 v11, v65, v11
	s_mov_b32 s28, 0
	v_cndmask_b32_e32 v65, 0, v66, vcc_lo
	s_delay_alu instid0(VALU_DEP_1) | instskip(NEXT) | instid1(VALU_DEP_1)
	v_add3_u32 v11, v11, v65, v64
	v_ashrrev_i32_e32 v64, 31, v11
.LBB2_166:                              ;   Parent Loop BB2_51 Depth=1
                                        ;     Parent Loop BB2_59 Depth=2
                                        ; =>    This Inner Loop Header: Depth=3
	s_waitcnt lgkmcnt(0)
	v_add_co_u32 v65, vcc_lo, v54, v11
	s_delay_alu instid0(VALU_DEP_2)
	v_add_co_ci_u32_e32 v66, vcc_lo, v55, v64, vcc_lo
	v_sub_nc_u32_e32 v2, v2, v98
	v_add_co_u32 v11, s13, v11, v114
	flat_load_b64 v[69:70], v[65:66] slc dlc
	v_add_co_ci_u32_e64 v64, s13, v64, v115, s13
	v_cmp_gt_i32_e32 vcc_lo, 8, v2
	s_or_b32 s28, vcc_lo, s28
	s_waitcnt vmcnt(0) lgkmcnt(0)
	flat_store_b64 v[65:66], v[69:70] glc slc dlc
	s_and_not1_b32 exec_lo, exec_lo, s28
	s_cbranch_execnz .LBB2_166
.LBB2_167:                              ;   in Loop: Header=BB2_59 Depth=2
	s_or_b32 exec_lo, exec_lo, s14
.LBB2_168:                              ;   in Loop: Header=BB2_59 Depth=2
	s_delay_alu instid0(SALU_CYCLE_1)
	s_or_b32 exec_lo, exec_lo, s20
	s_mov_b32 s14, s31
	s_mov_b32 s31, s12
	;; [unrolled: 1-line block ×4, first 2 shown]
.LBB2_169:                              ;   in Loop: Header=BB2_59 Depth=2
	s_and_saveexec_b32 s5, s3
	s_cbranch_execz .LBB2_191
; %bb.170:                              ;   in Loop: Header=BB2_59 Depth=2
	s_mov_b32 s10, s13
	s_mov_b32 s12, s34
	;; [unrolled: 1-line block ×4, first 2 shown]
	s_and_saveexec_b32 s20, s4
	s_delay_alu instid0(SALU_CYCLE_1)
	s_xor_b32 s4, exec_lo, s20
	s_cbranch_execz .LBB2_188
; %bb.171:                              ;   in Loop: Header=BB2_59 Depth=2
	s_mov_b32 s20, s1
	s_and_saveexec_b32 s28, s1
	s_cbranch_execz .LBB2_187
; %bb.172:                              ;   in Loop: Header=BB2_59 Depth=2
	s_mov_b32 s31, exec_lo
	s_mov_b32 s1, exec_lo
	v_mbcnt_lo_u32_b32 v2, s31, 0
	s_waitcnt lgkmcnt(0)
	s_waitcnt_vscnt null, 0x0
	buffer_gl1_inv
	buffer_gl0_inv
	v_cmpx_eq_u32_e32 0, v2
	s_cbranch_execz .LBB2_174
; %bb.173:                              ;   in Loop: Header=BB2_59 Depth=2
	s_bcnt1_i32_b32 vcc_lo, s31
	s_delay_alu instid0(SALU_CYCLE_1)
	v_mov_b32_e32 v2, vcc_lo
	ds_add_u64 v0, v[2:3]
	s_cbranch_execnz .LBB2_1601
.LBB2_174:                              ;   in Loop: Header=BB2_59 Depth=2
	s_or_b32 exec_lo, exec_lo, s1
	s_cbranch_execnz .LBB2_1577
; %bb.175:                              ;   in Loop: Header=BB2_59 Depth=2
	ds_load_b64 v[54:55], v0
	v_add_co_u32 v12, vcc_lo, v12, v85
	v_add_co_ci_u32_e32 v13, vcc_lo, 0, v13, vcc_lo
	s_mov_b32 s1, exec_lo
	s_waitcnt lgkmcnt(0)
	s_delay_alu instid0(VALU_DEP_1)
	v_cmpx_lt_u64_e64 v[54:55], v[12:13]
	s_cbranch_execz .LBB2_186
; %bb.176:                              ;   in Loop: Header=BB2_59 Depth=2
	s_mov_b32 s31, 0
	s_mov_b32 s38, 0
                                        ; implicit-def: $sgpr34
                                        ; implicit-def: $sgpr37
	s_branch .LBB2_178
.LBB2_177:                              ;   in Loop: Header=BB2_178 Depth=3
	s_or_b32 exec_lo, exec_lo, s40
	s_delay_alu instid0(SALU_CYCLE_1) | instskip(NEXT) | instid1(SALU_CYCLE_1)
	s_and_b32 vcc_lo, exec_lo, vcc_lo
	s_or_b32 s31, vcc_lo, s31
	s_and_not1_b32 vcc_lo, s34, exec_lo
	s_and_b32 s34, s37, exec_lo
	s_delay_alu instid0(SALU_CYCLE_1)
	s_or_b32 s34, vcc_lo, s34
	s_and_not1_b32 exec_lo, exec_lo, s31
	s_cbranch_execz .LBB2_184
.LBB2_178:                              ;   Parent Loop BB2_51 Depth=1
                                        ;     Parent Loop BB2_59 Depth=2
                                        ; =>    This Inner Loop Header: Depth=3
	s_add_i32 s38, s38, 1
                                        ; implicit-def: $sgpr40
	s_delay_alu instid0(SALU_CYCLE_1) | instskip(SKIP_1) | instid1(SALU_CYCLE_1)
	s_cmpk_lg_i32 s38, 0x2710
	s_cselect_b32 s39, -1, 0
	s_and_b32 vcc_lo, exec_lo, s39
	s_cbranch_vccz .LBB2_182
.LBB2_179:                              ;   in Loop: Header=BB2_178 Depth=3
	s_and_not1_b32 s37, s37, exec_lo
	s_and_b32 s40, s40, exec_lo
	s_mov_b32 vcc_lo, -1
	s_or_b32 s37, s37, s40
	s_and_saveexec_b32 s40, s39
	s_cbranch_execz .LBB2_177
; %bb.180:                              ;   in Loop: Header=BB2_178 Depth=3
	s_sleep 1
	s_cbranch_execnz .LBB2_1653
; %bb.181:                              ;   in Loop: Header=BB2_178 Depth=3
	ds_load_b64 v[54:55], v0
	s_and_not1_b32 s37, s37, exec_lo
	s_waitcnt lgkmcnt(0)
	v_cmp_ge_u64_e32 vcc_lo, v[54:55], v[12:13]
	s_or_not1_b32 vcc_lo, vcc_lo, exec_lo
	s_branch .LBB2_177
.LBB2_182:                              ;   in Loop: Header=BB2_178 Depth=3
	s_cbranch_execnz .LBB2_1663
; %bb.183:                              ;   in Loop: Header=BB2_178 Depth=3
	ds_load_b64 v[54:55], v0
	s_and_not1_b32 s39, s39, exec_lo
	s_mov_b32 s38, 0
	s_mov_b32 s40, -1
	s_waitcnt lgkmcnt(0)
	flat_load_b32 v2, v[54:55] glc
	s_waitcnt vmcnt(0) lgkmcnt(0)
	buffer_gl1_inv
	buffer_gl0_inv
	v_cmp_eq_u32_e32 vcc_lo, 0, v2
	s_and_b32 vcc_lo, vcc_lo, exec_lo
	s_delay_alu instid0(SALU_CYCLE_1)
	s_or_b32 s39, s39, vcc_lo
	s_branch .LBB2_179
.LBB2_184:                              ;   in Loop: Header=BB2_59 Depth=2
	s_or_b32 exec_lo, exec_lo, s31
	s_and_saveexec_b32 vcc_lo, s34
	s_delay_alu instid0(SALU_CYCLE_1)
	s_xor_b32 vcc_lo, exec_lo, vcc_lo
	s_cbranch_execz .LBB2_186
; %bb.185:                              ;   in Loop: Header=BB2_59 Depth=2
	ds_store_b32 v0, v118
	s_cbranch_execnz .LBB2_1877
.LBB2_186:                              ;   in Loop: Header=BB2_59 Depth=2
	s_or_b32 exec_lo, exec_lo, s1
	;;#ASMSTART
	s_wakeup
	;;#ASMEND
.LBB2_187:                              ;   in Loop: Header=BB2_59 Depth=2
	s_or_b32 exec_lo, exec_lo, s28
	s_mov_b32 s1, s20
.LBB2_188:                              ;   in Loop: Header=BB2_59 Depth=2
	s_and_not1_saveexec_b32 s4, s4
	s_cbranch_execz .LBB2_190
; %bb.189:                              ;   in Loop: Header=BB2_59 Depth=2
	s_waitcnt lgkmcnt(0)
	s_waitcnt_vscnt null, 0x0
	buffer_gl1_inv
	buffer_gl0_inv
	s_barrier
.LBB2_190:                              ;   in Loop: Header=BB2_59 Depth=2
	s_or_b32 exec_lo, exec_lo, s4
	s_mov_b32 s31, s13
	s_mov_b32 s34, s12
	;; [unrolled: 1-line block ×4, first 2 shown]
.LBB2_191:                              ;   in Loop: Header=BB2_59 Depth=2
	s_or_b32 exec_lo, exec_lo, s5
                                        ; implicit-def: $vgpr2
	s_and_saveexec_b32 s5, s7
	s_delay_alu instid0(SALU_CYCLE_1)
	s_xor_b32 s5, exec_lo, s5
	s_cbranch_execz .LBB2_195
; %bb.192:                              ;   in Loop: Header=BB2_59 Depth=2
	v_and_b32_e32 v2, 16, v30
	s_mov_b32 s10, s13
	v_cmp_lt_i32_e32 vcc_lo, 0, v9
	s_delay_alu instid0(VALU_DEP_2) | instskip(SKIP_1) | instid1(VALU_DEP_2)
	v_cmp_ne_u32_e64 s13, 0, v2
	v_and_b32_e32 v2, 16, v30
	s_and_b32 s13, s13, vcc_lo
	s_delay_alu instid0(SALU_CYCLE_1)
	s_and_saveexec_b32 s12, s13
	s_cbranch_execz .LBB2_194
; %bb.193:                              ;   in Loop: Header=BB2_59 Depth=2
	v_mov_b32_e32 v2, 1
	s_waitcnt lgkmcnt(0)
	s_waitcnt_vscnt null, 0x0
	buffer_gl1_inv
	buffer_gl0_inv
.LBB2_194:                              ;   in Loop: Header=BB2_59 Depth=2
	s_or_b32 exec_lo, exec_lo, s12
	s_mov_b32 s13, s10
.LBB2_195:                              ;   in Loop: Header=BB2_59 Depth=2
	s_and_not1_saveexec_b32 s5, s5
	s_cbranch_execz .LBB2_217
; %bb.196:                              ;   in Loop: Header=BB2_59 Depth=2
	s_mov_b32 s10, s13
	s_mov_b32 s12, s34
	s_mov_b32 s13, s31
	s_mov_b32 s36, s4
	s_and_saveexec_b32 s20, s4
	s_delay_alu instid0(SALU_CYCLE_1)
	s_xor_b32 s4, exec_lo, s20
	s_cbranch_execz .LBB2_214
; %bb.197:                              ;   in Loop: Header=BB2_59 Depth=2
	s_and_saveexec_b32 s20, s1
	s_cbranch_execz .LBB2_213
; %bb.198:                              ;   in Loop: Header=BB2_59 Depth=2
	s_mov_b32 s31, exec_lo
	s_mov_b32 s28, exec_lo
	v_mbcnt_lo_u32_b32 v2, s31, 0
	;;#ASMSTART
	s_waitcnt lgkmcnt(0) vmcnt(0)
	;;#ASMEND
	s_delay_alu instid0(VALU_DEP_1)
	v_cmpx_eq_u32_e32 0, v2
	s_cbranch_execz .LBB2_200
; %bb.199:                              ;   in Loop: Header=BB2_59 Depth=2
	s_bcnt1_i32_b32 vcc_lo, s31
	s_delay_alu instid0(SALU_CYCLE_1)
	v_mov_b32_e32 v2, vcc_lo
	ds_add_u64 v0, v[2:3]
	s_cbranch_execnz .LBB2_1609
.LBB2_200:                              ;   in Loop: Header=BB2_59 Depth=2
	s_or_b32 exec_lo, exec_lo, s28
	s_cbranch_execnz .LBB2_1583
; %bb.201:                              ;   in Loop: Header=BB2_59 Depth=2
	ds_load_b64 v[54:55], v0
	v_add_co_u32 v12, vcc_lo, v12, v85
	v_add_co_ci_u32_e32 v13, vcc_lo, 0, v13, vcc_lo
	s_mov_b32 s28, exec_lo
	s_waitcnt lgkmcnt(0)
	s_delay_alu instid0(VALU_DEP_1)
	v_cmpx_lt_u64_e64 v[54:55], v[12:13]
	s_cbranch_execz .LBB2_212
; %bb.202:                              ;   in Loop: Header=BB2_59 Depth=2
	s_mov_b32 s31, 0
	s_mov_b32 s38, 0
                                        ; implicit-def: $sgpr34
                                        ; implicit-def: $sgpr37
	s_branch .LBB2_204
.LBB2_203:                              ;   in Loop: Header=BB2_204 Depth=3
	s_or_b32 exec_lo, exec_lo, s40
	s_delay_alu instid0(SALU_CYCLE_1) | instskip(NEXT) | instid1(SALU_CYCLE_1)
	s_and_b32 vcc_lo, exec_lo, vcc_lo
	s_or_b32 s31, vcc_lo, s31
	s_and_not1_b32 vcc_lo, s34, exec_lo
	s_and_b32 s34, s37, exec_lo
	s_delay_alu instid0(SALU_CYCLE_1)
	s_or_b32 s34, vcc_lo, s34
	s_and_not1_b32 exec_lo, exec_lo, s31
	s_cbranch_execz .LBB2_210
.LBB2_204:                              ;   Parent Loop BB2_51 Depth=1
                                        ;     Parent Loop BB2_59 Depth=2
                                        ; =>    This Inner Loop Header: Depth=3
	s_add_i32 s38, s38, 1
                                        ; implicit-def: $sgpr40
	s_delay_alu instid0(SALU_CYCLE_1) | instskip(SKIP_1) | instid1(SALU_CYCLE_1)
	s_cmpk_lg_i32 s38, 0x2710
	s_cselect_b32 s39, -1, 0
	s_and_b32 vcc_lo, exec_lo, s39
	s_cbranch_vccz .LBB2_208
.LBB2_205:                              ;   in Loop: Header=BB2_204 Depth=3
	s_and_not1_b32 s37, s37, exec_lo
	s_and_b32 s40, s40, exec_lo
	s_mov_b32 vcc_lo, -1
	s_or_b32 s37, s37, s40
	s_and_saveexec_b32 s40, s39
	s_cbranch_execz .LBB2_203
; %bb.206:                              ;   in Loop: Header=BB2_204 Depth=3
	s_sleep 1
	s_cbranch_execnz .LBB2_1657
; %bb.207:                              ;   in Loop: Header=BB2_204 Depth=3
	ds_load_b64 v[54:55], v0
	s_and_not1_b32 s37, s37, exec_lo
	s_waitcnt lgkmcnt(0)
	v_cmp_ge_u64_e32 vcc_lo, v[54:55], v[12:13]
	s_or_not1_b32 vcc_lo, vcc_lo, exec_lo
	s_branch .LBB2_203
.LBB2_208:                              ;   in Loop: Header=BB2_204 Depth=3
	s_cbranch_execnz .LBB2_1675
; %bb.209:                              ;   in Loop: Header=BB2_204 Depth=3
	ds_load_b64 v[54:55], v0
	s_and_not1_b32 s39, s39, exec_lo
	s_mov_b32 s38, 0
	s_mov_b32 s40, -1
	s_waitcnt lgkmcnt(0)
	s_waitcnt_vscnt null, 0x0
	flat_load_b32 v2, v[54:55] glc
	s_waitcnt vmcnt(0) lgkmcnt(0)
	buffer_gl1_inv
	buffer_gl0_inv
	v_cmp_eq_u32_e32 vcc_lo, 0, v2
	s_and_b32 vcc_lo, vcc_lo, exec_lo
	s_delay_alu instid0(SALU_CYCLE_1)
	s_or_b32 s39, s39, vcc_lo
	s_branch .LBB2_205
.LBB2_210:                              ;   in Loop: Header=BB2_59 Depth=2
	s_or_b32 exec_lo, exec_lo, s31
	s_and_saveexec_b32 vcc_lo, s34
	s_delay_alu instid0(SALU_CYCLE_1)
	s_xor_b32 vcc_lo, exec_lo, vcc_lo
	s_cbranch_execz .LBB2_212
; %bb.211:                              ;   in Loop: Header=BB2_59 Depth=2
	ds_store_b32 v0, v118
	s_cbranch_execnz .LBB2_1881
.LBB2_212:                              ;   in Loop: Header=BB2_59 Depth=2
	s_or_b32 exec_lo, exec_lo, s28
	;;#ASMSTART
	s_wakeup
	;;#ASMEND
.LBB2_213:                              ;   in Loop: Header=BB2_59 Depth=2
	s_or_b32 exec_lo, exec_lo, s20
.LBB2_214:                              ;   in Loop: Header=BB2_59 Depth=2
	s_and_not1_saveexec_b32 s4, s4
	s_cbranch_execz .LBB2_216
; %bb.215:                              ;   in Loop: Header=BB2_59 Depth=2
	;;#ASMSTART
	s_waitcnt lgkmcnt(0) vmcnt(0)
	;;#ASMEND
	s_waitcnt lgkmcnt(0)
	s_waitcnt_vscnt null, 0x0
	s_barrier
.LBB2_216:                              ;   in Loop: Header=BB2_59 Depth=2
	s_or_b32 exec_lo, exec_lo, s4
	v_and_b32_e32 v2, 16, v30
	s_mov_b32 s31, s13
	s_mov_b32 s34, s12
	;; [unrolled: 1-line block ×4, first 2 shown]
.LBB2_217:                              ;   in Loop: Header=BB2_59 Depth=2
	s_or_b32 exec_lo, exec_lo, s5
	s_delay_alu instid0(SALU_CYCLE_1)
	s_mov_b32 s5, exec_lo
	v_cmpx_ne_u32_e32 0, v2
	s_cbranch_execz .LBB2_221
; %bb.218:                              ;   in Loop: Header=BB2_59 Depth=2
	s_and_saveexec_b32 s10, s11
	s_cbranch_execz .LBB2_220
; %bb.219:                              ;   in Loop: Header=BB2_59 Depth=2
	s_waitcnt lgkmcnt(0)
	s_waitcnt_vscnt null, 0x0
	flat_store_b32 v[26:27], v118
.LBB2_220:                              ;   in Loop: Header=BB2_59 Depth=2
	s_or_b32 exec_lo, exec_lo, s10
	v_add_co_u32 v22, vcc_lo, v22, 2
	v_add_co_ci_u32_e32 v23, vcc_lo, 0, v23, vcc_lo
	s_waitcnt lgkmcnt(0)
	s_waitcnt_vscnt null, 0x0
	flat_store_b64 v[20:21], v[22:23]
.LBB2_221:                              ;   in Loop: Header=BB2_59 Depth=2
	s_or_b32 exec_lo, exec_lo, s5
	v_add_nc_u32_e32 v10, v8, v10
	s_xor_b32 s5, s17, -1
	v_mov_b32_e32 v2, s30
	s_mov_b32 s17, 0
	s_mov_b32 s30, 2
	v_cmp_ge_i32_e32 vcc_lo, v10, v68
	s_or_b32 s5, s5, vcc_lo
	s_delay_alu instid0(SALU_CYCLE_1) | instskip(NEXT) | instid1(SALU_CYCLE_1)
	s_and_b32 s5, exec_lo, s5
	s_or_b32 s16, s5, s16
	s_delay_alu instid0(SALU_CYCLE_1)
	s_and_not1_b32 exec_lo, exec_lo, s16
	s_cbranch_execnz .LBB2_59
; %bb.222:                              ;   in Loop: Header=BB2_51 Depth=1
	s_or_b32 exec_lo, exec_lo, s16
.LBB2_223:                              ;   in Loop: Header=BB2_51 Depth=1
	s_delay_alu instid0(SALU_CYCLE_1) | instskip(NEXT) | instid1(SALU_CYCLE_1)
	s_or_b32 exec_lo, exec_lo, s15
	s_mov_b32 s10, exec_lo
	v_cmpx_gt_i32_e32 2, v2
	s_cbranch_execz .LBB2_306
; %bb.224:                              ;   in Loop: Header=BB2_51 Depth=1
	v_cmp_eq_u32_e64 s5, 0, v2
	s_mov_b32 s12, 0
.LBB2_225:                              ;   Parent Loop BB2_51 Depth=1
                                        ; =>  This Loop Header: Depth=2
                                        ;       Child Loop BB2_231 Depth 3
                                        ;       Child Loop BB2_260 Depth 3
	;; [unrolled: 1-line block ×3, first 2 shown]
	v_and_b32_e32 v2, 8, v30
	s_mov_b32 s16, -1
	s_mov_b32 s15, exec_lo
	s_delay_alu instid0(VALU_DEP_1)
	v_cmpx_ne_u32_e32 0, v2
	s_cbranch_execz .LBB2_239
; %bb.226:                              ;   in Loop: Header=BB2_225 Depth=2
	v_add_co_u32 v54, vcc_lo, v28, 8
	v_add_co_ci_u32_e32 v55, vcc_lo, 0, v29, vcc_lo
	v_add_co_u32 v52, vcc_lo, v22, 2
	v_add_co_ci_u32_e32 v53, vcc_lo, 0, v23, vcc_lo
	v_mov_b32_e32 v2, 1
	s_mov_b32 s16, exec_lo
	s_delay_alu instid0(VALU_DEP_2)
	v_cmpx_lt_u64_e64 v[54:55], v[52:53]
	s_cbranch_execz .LBB2_238
; %bb.227:                              ;   in Loop: Header=BB2_225 Depth=2
	v_mov_b32_e32 v2, 0
	s_mov_b32 s17, 0
                                        ; implicit-def: $sgpr20
	s_branch .LBB2_231
.LBB2_228:                              ;   in Loop: Header=BB2_231 Depth=3
	s_or_b32 exec_lo, exec_lo, s37
	v_mov_b32_e32 v9, 0
	s_or_not1_b32 s36, s36, exec_lo
.LBB2_229:                              ;   in Loop: Header=BB2_231 Depth=3
	s_or_b32 exec_lo, exec_lo, s30
	s_delay_alu instid0(VALU_DEP_1) | instskip(SKIP_2) | instid1(SALU_CYCLE_1)
	v_mov_b32_e32 v2, v9
	s_and_not1_b32 s20, s20, exec_lo
	s_and_b32 vcc_lo, s36, exec_lo
	s_or_b32 s20, s20, vcc_lo
.LBB2_230:                              ;   in Loop: Header=BB2_231 Depth=3
	s_or_b32 exec_lo, exec_lo, s28
	s_waitcnt vmcnt(0) lgkmcnt(0)
	v_add_co_u32 v54, vcc_lo, v28, 8
	v_add_co_ci_u32_e32 v55, vcc_lo, 0, v29, vcc_lo
	s_xor_b32 s28, s20, -1
	s_delay_alu instid0(VALU_DEP_1) | instskip(SKIP_1) | instid1(SALU_CYCLE_1)
	v_cmp_ge_u64_e32 vcc_lo, v[54:55], v[52:53]
	s_or_b32 s28, s28, vcc_lo
	s_and_b32 s28, exec_lo, s28
	s_delay_alu instid0(SALU_CYCLE_1) | instskip(NEXT) | instid1(SALU_CYCLE_1)
	s_or_b32 s17, s28, s17
	s_and_not1_b32 exec_lo, exec_lo, s17
	s_cbranch_execz .LBB2_237
.LBB2_231:                              ;   Parent Loop BB2_51 Depth=1
                                        ;     Parent Loop BB2_225 Depth=2
                                        ; =>    This Inner Loop Header: Depth=3
	s_sleep 1
	flat_load_b64 v[28:29], v[20:21] glc
	v_and_b32_e32 v9, 64, v30
	s_and_not1_b32 s20, s20, exec_lo
	s_mov_b32 s28, exec_lo
	s_delay_alu instid0(VALU_DEP_1)
	v_cmpx_eq_u32_e32 0, v9
	s_cbranch_execz .LBB2_230
; %bb.232:                              ;   in Loop: Header=BB2_231 Depth=3
	v_add_nc_u32_e32 v9, 1, v2
	s_mov_b32 s36, -1
	s_mov_b32 s30, exec_lo
	v_cmpx_lt_i32_e32 0x270e, v2
	s_cbranch_execz .LBB2_229
; %bb.233:                              ;   in Loop: Header=BB2_231 Depth=3
	s_cbranch_execnz .LBB2_1482
; %bb.234:                              ;   in Loop: Header=BB2_231 Depth=3
	ds_load_b64 v[54:55], v0
	s_mov_b32 s37, exec_lo
	s_waitcnt vmcnt(0) lgkmcnt(0)
	s_waitcnt_vscnt null, 0x0
	flat_load_b32 v2, v[54:55] glc
	s_waitcnt vmcnt(0) lgkmcnt(0)
	buffer_gl1_inv
	buffer_gl0_inv
	v_cmpx_ne_u32_e32 0, v2
	s_cbranch_execz .LBB2_228
; %bb.235:                              ;   in Loop: Header=BB2_231 Depth=3
	ds_store_b32 v0, v2
	s_cbranch_execnz .LBB2_1494
; %bb.236:                              ;   in Loop: Header=BB2_231 Depth=3
	v_or_b32_e32 v30, 64, v30
	s_xor_b32 s36, exec_lo, -1
	s_branch .LBB2_228
.LBB2_237:                              ;   in Loop: Header=BB2_225 Depth=2
	s_or_b32 exec_lo, exec_lo, s17
	v_and_b32_e32 v2, 8, v30
.LBB2_238:                              ;   in Loop: Header=BB2_225 Depth=2
	s_or_b32 exec_lo, exec_lo, s16
	s_delay_alu instid0(VALU_DEP_1)
	v_cmp_eq_u32_e32 vcc_lo, 0, v2
	;;#ASMSTART
	s_wakeup
	;;#ASMEND
	s_or_not1_b32 s16, vcc_lo, exec_lo
.LBB2_239:                              ;   in Loop: Header=BB2_225 Depth=2
	s_or_b32 exec_lo, exec_lo, s15
	v_sub_nc_u32_e32 v2, v68, v10
	s_xor_b32 s5, s5, -1
	s_delay_alu instid0(SALU_CYCLE_1) | instskip(NEXT) | instid1(SALU_CYCLE_1)
	s_and_b32 s5, exec_lo, s5
	s_or_b32 s12, s5, s12
	s_delay_alu instid0(VALU_DEP_1) | instskip(SKIP_1) | instid1(SALU_CYCLE_1)
	v_min_i32_e32 v8, v8, v2
	s_xor_b32 s15, s16, -1
	s_and_saveexec_b32 s5, s15
	s_cbranch_execz .LBB2_247
; %bb.240:                              ;   in Loop: Header=BB2_225 Depth=2
	v_and_b32_e32 v2, 0x100, v30
	s_mov_b32 s16, 0
	s_mov_b32 s15, exec_lo
                                        ; implicit-def: $vgpr54_vgpr55
	s_delay_alu instid0(VALU_DEP_1)
	v_cmpx_ne_u32_e32 0, v2
	s_xor_b32 s15, exec_lo, s15
                                        ; implicit-def: $vgpr52_vgpr53
	s_cbranch_execnz .LBB2_255
; %bb.241:                              ;   in Loop: Header=BB2_225 Depth=2
	s_and_not1_saveexec_b32 s15, s15
	s_cbranch_execnz .LBB2_258
.LBB2_242:                              ;   in Loop: Header=BB2_225 Depth=2
	s_or_b32 exec_lo, exec_lo, s15
	s_and_saveexec_b32 s15, s16
.LBB2_243:                              ;   in Loop: Header=BB2_225 Depth=2
	v_mul_lo_u32 v2, v3, v83
	v_mul_lo_u32 v9, v52, v84
	v_mad_u64_u32 v[54:55], null, v52, v83, 0
	s_delay_alu instid0(VALU_DEP_1)
	v_add3_u32 v55, v55, v9, v2
.LBB2_244:                              ;   in Loop: Header=BB2_225 Depth=2
	s_or_b32 exec_lo, exec_lo, s15
	s_delay_alu instid0(VALU_DEP_1) | instskip(SKIP_2) | instid1(VALU_DEP_2)
	v_lshlrev_b64 v[52:53], 3, v[54:55]
	v_and_b32_e32 v2, 0x2000, v30
	s_mov_b32 s15, exec_lo
	v_add_co_u32 v52, vcc_lo, v24, v52
	s_delay_alu instid0(VALU_DEP_3)
	v_add_co_ci_u32_e32 v53, vcc_lo, v25, v53, vcc_lo
	ds_store_b64 v0, v[52:53] offset:784
	v_cmpx_ne_u32_e32 0, v2
	s_cbranch_execz .LBB2_246
; %bb.245:                              ;   in Loop: Header=BB2_225 Depth=2
	ds_load_b64 v[52:53], v0 offset:584
	s_waitcnt lgkmcnt(0)
	v_add_co_u32 v52, vcc_lo, v52, 1
	v_add_co_ci_u32_e32 v53, vcc_lo, 0, v53, vcc_lo
	ds_store_b64 v0, v[52:53] offset:584
.LBB2_246:                              ;   in Loop: Header=BB2_225 Depth=2
	s_or_b32 exec_lo, exec_lo, s15
	v_add_co_u32 v22, vcc_lo, v22, 2
	v_add_co_ci_u32_e32 v23, vcc_lo, 0, v23, vcc_lo
.LBB2_247:                              ;   in Loop: Header=BB2_225 Depth=2
	s_or_b32 exec_lo, exec_lo, s5
	s_and_saveexec_b32 s5, s3
	s_cbranch_execz .LBB2_273
; %bb.248:                              ;   in Loop: Header=BB2_225 Depth=2
	s_and_saveexec_b32 s15, s4
	s_delay_alu instid0(SALU_CYCLE_1)
	s_xor_b32 s15, exec_lo, s15
	s_cbranch_execz .LBB2_270
; %bb.249:                              ;   in Loop: Header=BB2_225 Depth=2
	s_and_saveexec_b32 s16, s1
	s_cbranch_execz .LBB2_269
; %bb.250:                              ;   in Loop: Header=BB2_225 Depth=2
	s_mov_b32 s17, exec_lo
	s_mov_b32 s30, exec_lo
	v_mbcnt_lo_u32_b32 v2, s17, 0
	s_waitcnt lgkmcnt(0)
	s_waitcnt_vscnt null, 0x0
	buffer_gl1_inv
	buffer_gl0_inv
	v_cmpx_eq_u32_e32 0, v2
	s_cbranch_execz .LBB2_252
; %bb.251:                              ;   in Loop: Header=BB2_225 Depth=2
	s_bcnt1_i32_b32 s17, s17
	s_delay_alu instid0(SALU_CYCLE_1)
	v_mov_b32_e32 v2, s17
	ds_add_u64 v0, v[2:3]
	s_cbranch_execnz .LBB2_1525
.LBB2_252:                              ;   in Loop: Header=BB2_225 Depth=2
	s_or_b32 exec_lo, exec_lo, s30
	s_cbranch_execnz .LBB2_1507
; %bb.253:                              ;   in Loop: Header=BB2_225 Depth=2
	ds_load_b64 v[52:53], v0
	v_add_co_u32 v12, vcc_lo, v12, v85
	v_add_co_ci_u32_e32 v13, vcc_lo, 0, v13, vcc_lo
	s_mov_b32 s17, s29
	s_mov_b32 s20, s34
	;; [unrolled: 1-line block ×3, first 2 shown]
	s_mov_b32 s29, exec_lo
	s_waitcnt lgkmcnt(0)
	v_cmpx_lt_u64_e64 v[52:53], v[12:13]
	s_cbranch_execz .LBB2_268
; %bb.254:                              ;   in Loop: Header=BB2_225 Depth=2
	s_mov_b32 s30, 0
	s_mov_b32 s36, 0
                                        ; implicit-def: $sgpr31
                                        ; implicit-def: $sgpr34
	s_branch .LBB2_260
.LBB2_255:                              ;   in Loop: Header=BB2_225 Depth=2
	v_and_b32_e32 v52, 7, v22
	v_ashrrev_i32_e32 v9, 31, v8
	s_mov_b32 s16, -1
	s_mov_b32 s17, exec_lo
	s_delay_alu instid0(VALU_DEP_2) | instskip(NEXT) | instid1(VALU_DEP_2)
	v_mad_u64_u32 v[64:65], null, v52, 24, v[6:7]
	v_lshlrev_b64 v[53:54], 3, v[8:9]
	flat_load_b32 v2, v[64:65]
	flat_store_b64 v[64:65], v[53:54] offset:8
                                        ; implicit-def: $vgpr54_vgpr55
	s_waitcnt vmcnt(0) lgkmcnt(1)
	v_cmpx_eq_u32_e32 1, v2
	s_cbranch_execz .LBB2_257
; %bb.256:                              ;   in Loop: Header=BB2_225 Depth=2
	flat_load_b32 v52, v[64:65] offset:4 glc
	s_xor_b32 s16, exec_lo, -1
	s_waitcnt vmcnt(0) lgkmcnt(0)
	v_ashrrev_i32_e32 v53, 31, v52
	s_delay_alu instid0(VALU_DEP_1)
	v_lshrrev_b64 v[54:55], 3, v[52:53]
                                        ; implicit-def: $vgpr52_vgpr53
.LBB2_257:                              ;   in Loop: Header=BB2_225 Depth=2
	s_or_b32 exec_lo, exec_lo, s17
	s_delay_alu instid0(SALU_CYCLE_1)
	s_and_b32 s16, s16, exec_lo
	s_and_not1_saveexec_b32 s15, s15
	s_cbranch_execz .LBB2_242
.LBB2_258:                              ;   in Loop: Header=BB2_225 Depth=2
	v_and_b32_e32 v52, 7, v22
	s_or_b32 s16, s16, exec_lo
                                        ; implicit-def: $vgpr54_vgpr55
	s_or_b32 exec_lo, exec_lo, s15
	s_and_saveexec_b32 s15, s16
	s_cbranch_execnz .LBB2_243
	s_branch .LBB2_244
.LBB2_259:                              ;   in Loop: Header=BB2_260 Depth=3
	s_or_b32 exec_lo, exec_lo, s38
	s_delay_alu instid0(SALU_CYCLE_1) | instskip(NEXT) | instid1(SALU_CYCLE_1)
	s_and_b32 vcc_lo, exec_lo, vcc_lo
	s_or_b32 s30, vcc_lo, s30
	s_and_not1_b32 vcc_lo, s31, exec_lo
	s_and_b32 s31, s34, exec_lo
	s_delay_alu instid0(SALU_CYCLE_1)
	s_or_b32 s31, vcc_lo, s31
	s_and_not1_b32 exec_lo, exec_lo, s30
	s_cbranch_execz .LBB2_266
.LBB2_260:                              ;   Parent Loop BB2_51 Depth=1
                                        ;     Parent Loop BB2_225 Depth=2
                                        ; =>    This Inner Loop Header: Depth=3
	s_add_i32 s36, s36, 1
                                        ; implicit-def: $sgpr38
	s_delay_alu instid0(SALU_CYCLE_1) | instskip(SKIP_1) | instid1(SALU_CYCLE_1)
	s_cmpk_lg_i32 s36, 0x2710
	s_cselect_b32 s37, -1, 0
	s_and_b32 vcc_lo, exec_lo, s37
	s_cbranch_vccz .LBB2_264
.LBB2_261:                              ;   in Loop: Header=BB2_260 Depth=3
	s_and_not1_b32 s34, s34, exec_lo
	s_and_b32 s38, s38, exec_lo
	s_mov_b32 vcc_lo, -1
	s_or_b32 s34, s34, s38
	s_and_saveexec_b32 s38, s37
	s_cbranch_execz .LBB2_259
; %bb.262:                              ;   in Loop: Header=BB2_260 Depth=3
	s_sleep 1
	s_cbranch_execnz .LBB2_1555
; %bb.263:                              ;   in Loop: Header=BB2_260 Depth=3
	ds_load_b64 v[52:53], v0
	s_and_not1_b32 s34, s34, exec_lo
	s_waitcnt lgkmcnt(0)
	v_cmp_ge_u64_e32 vcc_lo, v[52:53], v[12:13]
	s_or_not1_b32 vcc_lo, vcc_lo, exec_lo
	s_branch .LBB2_259
.LBB2_264:                              ;   in Loop: Header=BB2_260 Depth=3
	s_cbranch_execnz .LBB2_1561
; %bb.265:                              ;   in Loop: Header=BB2_260 Depth=3
	ds_load_b64 v[52:53], v0
	s_and_not1_b32 s37, s37, exec_lo
	s_mov_b32 s36, 0
	s_mov_b32 s38, -1
	s_waitcnt lgkmcnt(0)
	flat_load_b32 v2, v[52:53] glc
	s_waitcnt vmcnt(0) lgkmcnt(0)
	buffer_gl1_inv
	buffer_gl0_inv
	v_cmp_eq_u32_e32 vcc_lo, 0, v2
	s_and_b32 vcc_lo, vcc_lo, exec_lo
	s_delay_alu instid0(SALU_CYCLE_1)
	s_or_b32 s37, s37, vcc_lo
	s_branch .LBB2_261
.LBB2_266:                              ;   in Loop: Header=BB2_225 Depth=2
	s_or_b32 exec_lo, exec_lo, s30
	s_and_saveexec_b32 vcc_lo, s31
	s_delay_alu instid0(SALU_CYCLE_1)
	s_xor_b32 vcc_lo, exec_lo, vcc_lo
	s_cbranch_execz .LBB2_268
; %bb.267:                              ;   in Loop: Header=BB2_225 Depth=2
	ds_store_b32 v0, v118
	s_cbranch_execnz .LBB2_1771
.LBB2_268:                              ;   in Loop: Header=BB2_225 Depth=2
	s_or_b32 exec_lo, exec_lo, s29
	s_mov_b32 s31, s28
	s_mov_b32 s34, s20
	;; [unrolled: 1-line block ×3, first 2 shown]
	;;#ASMSTART
	s_wakeup
	;;#ASMEND
.LBB2_269:                              ;   in Loop: Header=BB2_225 Depth=2
	s_or_b32 exec_lo, exec_lo, s16
.LBB2_270:                              ;   in Loop: Header=BB2_225 Depth=2
	s_and_not1_saveexec_b32 s15, s15
	s_cbranch_execz .LBB2_272
; %bb.271:                              ;   in Loop: Header=BB2_225 Depth=2
	s_waitcnt lgkmcnt(0)
	s_waitcnt_vscnt null, 0x0
	buffer_gl1_inv
	buffer_gl0_inv
	s_barrier
.LBB2_272:                              ;   in Loop: Header=BB2_225 Depth=2
	s_or_b32 exec_lo, exec_lo, s15
.LBB2_273:                              ;   in Loop: Header=BB2_225 Depth=2
	s_delay_alu instid0(SALU_CYCLE_1) | instskip(SKIP_1) | instid1(SALU_CYCLE_1)
	s_or_b32 exec_lo, exec_lo, s5
                                        ; implicit-def: $vgpr2
	s_and_saveexec_b32 s5, s7
	s_xor_b32 s5, exec_lo, s5
	s_cbranch_execz .LBB2_278
; %bb.274:                              ;   in Loop: Header=BB2_225 Depth=2
	s_cbranch_execnz .LBB2_1480
; %bb.275:                              ;   in Loop: Header=BB2_225 Depth=2
	ds_load_b32 v2, v0
	s_mov_b32 s15, s13
	v_cmp_lt_i32_e32 vcc_lo, 0, v8
	s_waitcnt lgkmcnt(0)
	v_readfirstlane_b32 s13, v2
	v_and_b32_e32 v2, 16, v30
	s_delay_alu instid0(VALU_DEP_2) | instskip(NEXT) | instid1(VALU_DEP_1)
	s_cmp_eq_u32 s13, 0
	v_cmp_ne_u32_e64 s13, 0, v2
	s_cselect_b32 s16, -1, 0
	v_and_b32_e32 v2, 16, v30
	s_and_b32 s16, vcc_lo, s16
	s_delay_alu instid0(VALU_DEP_2) | instid1(SALU_CYCLE_1)
	s_and_b32 s16, s13, s16
	s_delay_alu instid0(SALU_CYCLE_1)
	s_and_saveexec_b32 s13, s16
	s_cbranch_execz .LBB2_277
; %bb.276:                              ;   in Loop: Header=BB2_225 Depth=2
	v_mov_b32_e32 v2, 1
	s_waitcnt_vscnt null, 0x0
	buffer_gl1_inv
	buffer_gl0_inv
.LBB2_277:                              ;   in Loop: Header=BB2_225 Depth=2
	s_or_b32 exec_lo, exec_lo, s13
	s_mov_b32 s13, s15
.LBB2_278:                              ;   in Loop: Header=BB2_225 Depth=2
	s_and_not1_saveexec_b32 s5, s5
	s_cbranch_execz .LBB2_300
; %bb.279:                              ;   in Loop: Header=BB2_225 Depth=2
	s_and_saveexec_b32 s15, s4
	s_delay_alu instid0(SALU_CYCLE_1)
	s_xor_b32 s15, exec_lo, s15
	s_cbranch_execz .LBB2_297
; %bb.280:                              ;   in Loop: Header=BB2_225 Depth=2
	s_and_saveexec_b32 s16, s1
	s_cbranch_execz .LBB2_296
; %bb.281:                              ;   in Loop: Header=BB2_225 Depth=2
	s_mov_b32 s30, exec_lo
	s_mov_b32 s17, s29
	v_mbcnt_lo_u32_b32 v2, s30, 0
	s_mov_b32 s20, s34
	s_mov_b32 s28, s31
	s_mov_b32 s29, exec_lo
	;;#ASMSTART
	s_waitcnt lgkmcnt(0) vmcnt(0)
	;;#ASMEND
	v_cmpx_eq_u32_e32 0, v2
	s_cbranch_execz .LBB2_283
; %bb.282:                              ;   in Loop: Header=BB2_225 Depth=2
	s_bcnt1_i32_b32 vcc_lo, s30
	s_delay_alu instid0(SALU_CYCLE_1)
	v_mov_b32_e32 v2, vcc_lo
	ds_add_u64 v0, v[2:3]
	s_cbranch_execnz .LBB2_1543
.LBB2_283:                              ;   in Loop: Header=BB2_225 Depth=2
	s_or_b32 exec_lo, exec_lo, s29
	s_cbranch_execnz .LBB2_1521
; %bb.284:                              ;   in Loop: Header=BB2_225 Depth=2
	ds_load_b64 v[52:53], v0
	v_add_co_u32 v12, vcc_lo, v12, v85
	v_add_co_ci_u32_e32 v13, vcc_lo, 0, v13, vcc_lo
	s_mov_b32 s29, exec_lo
	s_waitcnt lgkmcnt(0)
	s_delay_alu instid0(VALU_DEP_1)
	v_cmpx_lt_u64_e64 v[52:53], v[12:13]
	s_cbranch_execz .LBB2_295
; %bb.285:                              ;   in Loop: Header=BB2_225 Depth=2
	s_mov_b32 s30, 0
	s_mov_b32 s36, 0
                                        ; implicit-def: $sgpr31
                                        ; implicit-def: $sgpr34
	s_branch .LBB2_287
.LBB2_286:                              ;   in Loop: Header=BB2_287 Depth=3
	s_or_b32 exec_lo, exec_lo, s38
	s_delay_alu instid0(SALU_CYCLE_1) | instskip(NEXT) | instid1(SALU_CYCLE_1)
	s_and_b32 vcc_lo, exec_lo, vcc_lo
	s_or_b32 s30, vcc_lo, s30
	s_and_not1_b32 vcc_lo, s31, exec_lo
	s_and_b32 s31, s34, exec_lo
	s_delay_alu instid0(SALU_CYCLE_1)
	s_or_b32 s31, vcc_lo, s31
	s_and_not1_b32 exec_lo, exec_lo, s30
	s_cbranch_execz .LBB2_293
.LBB2_287:                              ;   Parent Loop BB2_51 Depth=1
                                        ;     Parent Loop BB2_225 Depth=2
                                        ; =>    This Inner Loop Header: Depth=3
	s_add_i32 s36, s36, 1
                                        ; implicit-def: $sgpr38
	s_delay_alu instid0(SALU_CYCLE_1) | instskip(SKIP_1) | instid1(SALU_CYCLE_1)
	s_cmpk_lg_i32 s36, 0x2710
	s_cselect_b32 s37, -1, 0
	s_and_b32 vcc_lo, exec_lo, s37
	s_cbranch_vccz .LBB2_291
.LBB2_288:                              ;   in Loop: Header=BB2_287 Depth=3
	s_and_not1_b32 s34, s34, exec_lo
	s_and_b32 s38, s38, exec_lo
	s_mov_b32 vcc_lo, -1
	s_or_b32 s34, s34, s38
	s_and_saveexec_b32 s38, s37
	s_cbranch_execz .LBB2_286
; %bb.289:                              ;   in Loop: Header=BB2_287 Depth=3
	s_sleep 1
	s_cbranch_execnz .LBB2_1567
; %bb.290:                              ;   in Loop: Header=BB2_287 Depth=3
	ds_load_b64 v[52:53], v0
	s_and_not1_b32 s34, s34, exec_lo
	s_waitcnt lgkmcnt(0)
	v_cmp_ge_u64_e32 vcc_lo, v[52:53], v[12:13]
	s_or_not1_b32 vcc_lo, vcc_lo, exec_lo
	s_branch .LBB2_286
.LBB2_291:                              ;   in Loop: Header=BB2_287 Depth=3
	s_cbranch_execnz .LBB2_1579
; %bb.292:                              ;   in Loop: Header=BB2_287 Depth=3
	ds_load_b64 v[52:53], v0
	s_and_not1_b32 s37, s37, exec_lo
	s_mov_b32 s36, 0
	s_mov_b32 s38, -1
	s_waitcnt lgkmcnt(0)
	s_waitcnt_vscnt null, 0x0
	flat_load_b32 v2, v[52:53] glc
	s_waitcnt vmcnt(0) lgkmcnt(0)
	buffer_gl1_inv
	buffer_gl0_inv
	v_cmp_eq_u32_e32 vcc_lo, 0, v2
	s_and_b32 vcc_lo, vcc_lo, exec_lo
	s_delay_alu instid0(SALU_CYCLE_1)
	s_or_b32 s37, s37, vcc_lo
	s_branch .LBB2_288
.LBB2_293:                              ;   in Loop: Header=BB2_225 Depth=2
	s_or_b32 exec_lo, exec_lo, s30
	s_and_saveexec_b32 vcc_lo, s31
	s_delay_alu instid0(SALU_CYCLE_1)
	s_xor_b32 vcc_lo, exec_lo, vcc_lo
	s_cbranch_execz .LBB2_295
; %bb.294:                              ;   in Loop: Header=BB2_225 Depth=2
	ds_store_b32 v0, v118
	s_cbranch_execnz .LBB2_1791
.LBB2_295:                              ;   in Loop: Header=BB2_225 Depth=2
	s_or_b32 exec_lo, exec_lo, s29
	s_mov_b32 s31, s28
	s_mov_b32 s34, s20
	s_mov_b32 s29, s17
	;;#ASMSTART
	s_wakeup
	;;#ASMEND
.LBB2_296:                              ;   in Loop: Header=BB2_225 Depth=2
	s_or_b32 exec_lo, exec_lo, s16
.LBB2_297:                              ;   in Loop: Header=BB2_225 Depth=2
	s_and_not1_saveexec_b32 s15, s15
	s_cbranch_execz .LBB2_299
; %bb.298:                              ;   in Loop: Header=BB2_225 Depth=2
	;;#ASMSTART
	s_waitcnt lgkmcnt(0) vmcnt(0)
	;;#ASMEND
	s_waitcnt lgkmcnt(0)
	s_waitcnt_vscnt null, 0x0
	s_barrier
.LBB2_299:                              ;   in Loop: Header=BB2_225 Depth=2
	s_or_b32 exec_lo, exec_lo, s15
	v_and_b32_e32 v2, 16, v30
.LBB2_300:                              ;   in Loop: Header=BB2_225 Depth=2
	s_or_b32 exec_lo, exec_lo, s5
	s_delay_alu instid0(SALU_CYCLE_1) | instskip(NEXT) | instid1(VALU_DEP_1)
	s_mov_b32 s5, exec_lo
	v_cmpx_ne_u32_e32 0, v2
	s_cbranch_execz .LBB2_304
; %bb.301:                              ;   in Loop: Header=BB2_225 Depth=2
	s_and_saveexec_b32 s15, s11
	s_cbranch_execz .LBB2_303
; %bb.302:                              ;   in Loop: Header=BB2_225 Depth=2
	s_waitcnt lgkmcnt(0)
	s_waitcnt_vscnt null, 0x0
	flat_store_b32 v[26:27], v118
.LBB2_303:                              ;   in Loop: Header=BB2_225 Depth=2
	s_or_b32 exec_lo, exec_lo, s15
	v_add_co_u32 v22, vcc_lo, v22, 2
	v_add_co_ci_u32_e32 v23, vcc_lo, 0, v23, vcc_lo
	s_waitcnt lgkmcnt(0)
	s_waitcnt_vscnt null, 0x0
	flat_store_b64 v[20:21], v[22:23]
.LBB2_304:                              ;   in Loop: Header=BB2_225 Depth=2
	s_or_b32 exec_lo, exec_lo, s5
	v_add_nc_u32_e32 v10, v8, v10
	s_mov_b32 s5, 0
	s_and_not1_b32 exec_lo, exec_lo, s12
	s_cbranch_execnz .LBB2_225
; %bb.305:                              ;   in Loop: Header=BB2_51 Depth=1
	s_or_b32 exec_lo, exec_lo, s12
.LBB2_306:                              ;   in Loop: Header=BB2_51 Depth=1
	s_delay_alu instid0(SALU_CYCLE_1) | instskip(NEXT) | instid1(SALU_CYCLE_1)
	s_or_b32 exec_lo, exec_lo, s10
	s_and_not1_b32 vcc_lo, exec_lo, s29
	s_cbranch_vccnz .LBB2_566
; %bb.307:                              ;   in Loop: Header=BB2_51 Depth=1
	s_mov_b32 s16, 2
.LBB2_308:                              ;   Parent Loop BB2_51 Depth=1
                                        ; =>  This Loop Header: Depth=2
                                        ;       Child Loop BB2_310 Depth 3
                                        ;         Child Loop BB2_319 Depth 4
                                        ;         Child Loop BB2_351 Depth 4
	;; [unrolled: 1-line block ×9, first 2 shown]
                                        ;       Child Loop BB2_483 Depth 3
                                        ;         Child Loop BB2_489 Depth 4
                                        ;         Child Loop BB2_519 Depth 4
                                        ;         Child Loop BB2_541 Depth 4
	s_delay_alu instid0(SALU_CYCLE_1) | instskip(SKIP_4) | instid1(SALU_CYCLE_1)
	s_sub_i32 s5, s24, s16
	v_mov_b32_e32 v10, 0
	s_cmp_le_i32 s19, s5
	s_mov_b32 s30, 0
	s_cselect_b32 s10, s19, 0
	s_sub_i32 s5, s5, s10
	s_delay_alu instid0(SALU_CYCLE_1) | instskip(SKIP_3) | instid1(VALU_DEP_1)
	s_ashr_i32 s10, s5, 31
	v_mul_lo_u32 v2, v39, s5
	v_mad_u64_u32 v[52:53], null, v38, s5, 0
	v_mul_lo_u32 v8, v38, s10
	v_add3_u32 v53, v53, v8, v2
	s_delay_alu instid0(VALU_DEP_3) | instskip(NEXT) | instid1(VALU_DEP_2)
	v_sub_co_u32 v8, vcc_lo, v48, v52
	v_sub_co_ci_u32_e32 v9, vcc_lo, v49, v53, vcc_lo
	s_delay_alu instid0(VALU_DEP_1) | instskip(SKIP_1) | instid1(VALU_DEP_1)
	v_cmp_lt_i64_e32 vcc_lo, v[38:39], v[8:9]
	v_cndmask_b32_e32 v8, v8, v38, vcc_lo
	v_max_i32_e32 v68, 0, v8
	v_cmp_lt_i32_e32 vcc_lo, 0, v8
	s_delay_alu instid0(VALU_DEP_2) | instskip(SKIP_1) | instid1(VALU_DEP_1)
	v_add_nc_u32_e32 v2, 31, v68
	s_and_b32 s5, s34, vcc_lo
	v_lshrrev_b32_e32 v2, 1, v2
	s_delay_alu instid0(VALU_DEP_1) | instskip(NEXT) | instid1(VALU_DEP_1)
	v_dual_mov_b32 v2, 0 :: v_dual_and_b32 v9, 0x3ffffff0, v2
	v_max_i32_e32 v8, s25, v9
	s_and_saveexec_b32 s17, s5
	s_cbranch_execz .LBB2_481
; %bb.309:                              ;   in Loop: Header=BB2_308 Depth=2
	v_lshlrev_b64 v[52:53], 3, v[52:53]
	v_mov_b32_e32 v10, 0
	s_mov_b32 s20, s13
	s_mov_b32 s36, s31
	;; [unrolled: 1-line block ×3, first 2 shown]
	s_mov_b32 s15, -1
.LBB2_310:                              ;   Parent Loop BB2_51 Depth=1
                                        ;     Parent Loop BB2_308 Depth=2
                                        ; =>    This Loop Header: Depth=3
                                        ;         Child Loop BB2_319 Depth 4
                                        ;         Child Loop BB2_351 Depth 4
                                        ;         Child Loop BB2_374 Depth 4
                                        ;         Child Loop BB2_401 Depth 4
                                        ;         Child Loop BB2_407 Depth 4
                                        ;         Child Loop BB2_418 Depth 4
                                        ;         Child Loop BB2_424 Depth 4
                                        ;         Child Loop BB2_436 Depth 4
                                        ;         Child Loop BB2_462 Depth 4
	s_and_saveexec_b32 s5, s0
	s_cbranch_execz .LBB2_313
; %bb.311:                              ;   in Loop: Header=BB2_310 Depth=3
	s_cbranch_execnz .LBB2_1490
; %bb.312:                              ;   in Loop: Header=BB2_310 Depth=3
	ds_load_b64 v[54:55], v0
	v_lshlrev_b64 v[64:65], 3, v[50:51]
	v_ashrrev_i32_e32 v11, 31, v10
	s_waitcnt lgkmcnt(0)
	s_delay_alu instid0(VALU_DEP_2) | instskip(NEXT) | instid1(VALU_DEP_3)
	v_add_co_u32 v2, vcc_lo, v54, v64
	v_add_co_ci_u32_e32 v9, vcc_lo, v55, v65, vcc_lo
	s_delay_alu instid0(VALU_DEP_3) | instskip(NEXT) | instid1(VALU_DEP_3)
	v_lshlrev_b64 v[54:55], 3, v[10:11]
	v_add_co_u32 v2, vcc_lo, v2, v52
	s_delay_alu instid0(VALU_DEP_3) | instskip(NEXT) | instid1(VALU_DEP_2)
	v_add_co_ci_u32_e32 v9, vcc_lo, v9, v53, vcc_lo
	v_add_co_u32 v54, vcc_lo, v2, v54
	s_delay_alu instid0(VALU_DEP_2)
	v_add_co_ci_u32_e32 v55, vcc_lo, v9, v55, vcc_lo
	v_mov_b32_e32 v2, v3
	ds_store_b64 v0, v[54:55]
	ds_store_b64 v0, v[2:3]
.LBB2_313:                              ;   in Loop: Header=BB2_310 Depth=3
	s_or_b32 exec_lo, exec_lo, s5
	v_and_b32_e32 v2, 12, v30
	s_mov_b32 s31, -1
	s_mov_b32 s5, exec_lo
	s_delay_alu instid0(VALU_DEP_1)
	v_cmpx_ne_u32_e32 0, v2
	s_cbranch_execz .LBB2_327
; %bb.314:                              ;   in Loop: Header=BB2_310 Depth=3
	v_dual_mov_b32 v9, 1 :: v_dual_and_b32 v2, 8, v30
	s_mov_b32 s10, s29
	s_mov_b32 s12, s13
	;; [unrolled: 1-line block ×3, first 2 shown]
	s_delay_alu instid0(VALU_DEP_1)
	v_add_co_u32 v64, vcc_lo, v28, v2
	v_add_co_ci_u32_e32 v65, vcc_lo, 0, v29, vcc_lo
	v_add_co_u32 v54, vcc_lo, v22, 2
	v_add_co_ci_u32_e32 v55, vcc_lo, 0, v23, vcc_lo
	s_mov_b32 s15, s20
	s_mov_b32 s20, s34
	;; [unrolled: 1-line block ×3, first 2 shown]
	s_mov_b32 s29, exec_lo
	v_cmpx_lt_u64_e64 v[64:65], v[54:55]
	s_cbranch_execz .LBB2_326
; %bb.315:                              ;   in Loop: Header=BB2_310 Depth=3
	v_mov_b32_e32 v9, 0
	s_mov_b32 s31, 0
                                        ; implicit-def: $sgpr34
	s_branch .LBB2_319
.LBB2_316:                              ;   in Loop: Header=BB2_319 Depth=4
	s_or_b32 exec_lo, exec_lo, s39
	v_mov_b32_e32 v11, 0
	s_or_not1_b32 s38, s38, exec_lo
.LBB2_317:                              ;   in Loop: Header=BB2_319 Depth=4
	s_or_b32 exec_lo, exec_lo, s37
	s_delay_alu instid0(VALU_DEP_1) | instskip(SKIP_2) | instid1(SALU_CYCLE_1)
	v_mov_b32_e32 v9, v11
	s_and_not1_b32 vcc_lo, s34, exec_lo
	s_and_b32 s34, s38, exec_lo
	s_or_b32 s34, vcc_lo, s34
.LBB2_318:                              ;   in Loop: Header=BB2_319 Depth=4
	s_or_b32 exec_lo, exec_lo, s36
	s_waitcnt vmcnt(0) lgkmcnt(0)
	v_add_co_u32 v64, vcc_lo, v28, v2
	v_add_co_ci_u32_e32 v65, vcc_lo, 0, v29, vcc_lo
	s_xor_b32 s36, s34, -1
	s_delay_alu instid0(VALU_DEP_1) | instskip(SKIP_1) | instid1(SALU_CYCLE_1)
	v_cmp_ge_u64_e32 vcc_lo, v[64:65], v[54:55]
	s_or_b32 vcc_lo, s36, vcc_lo
	s_and_b32 vcc_lo, exec_lo, vcc_lo
	s_delay_alu instid0(SALU_CYCLE_1) | instskip(NEXT) | instid1(SALU_CYCLE_1)
	s_or_b32 s31, vcc_lo, s31
	s_and_not1_b32 exec_lo, exec_lo, s31
	s_cbranch_execz .LBB2_325
.LBB2_319:                              ;   Parent Loop BB2_51 Depth=1
                                        ;     Parent Loop BB2_308 Depth=2
                                        ;       Parent Loop BB2_310 Depth=3
                                        ; =>      This Inner Loop Header: Depth=4
	s_sleep 1
	flat_load_b64 v[28:29], v[20:21] glc
	v_and_b32_e32 v11, 64, v30
	s_and_not1_b32 s34, s34, exec_lo
	s_mov_b32 s36, exec_lo
	s_delay_alu instid0(VALU_DEP_1)
	v_cmpx_eq_u32_e32 0, v11
	s_cbranch_execz .LBB2_318
; %bb.320:                              ;   in Loop: Header=BB2_319 Depth=4
	v_add_nc_u32_e32 v11, 1, v9
	s_mov_b32 s38, -1
	s_mov_b32 s37, exec_lo
	v_cmpx_lt_i32_e32 0x270e, v9
	s_cbranch_execz .LBB2_317
; %bb.321:                              ;   in Loop: Header=BB2_319 Depth=4
	s_cbranch_execnz .LBB2_1523
; %bb.322:                              ;   in Loop: Header=BB2_319 Depth=4
	ds_load_b64 v[64:65], v0
	s_mov_b32 s39, exec_lo
	s_waitcnt vmcnt(0) lgkmcnt(0)
	s_waitcnt_vscnt null, 0x0
	flat_load_b32 v9, v[64:65] glc
	s_waitcnt vmcnt(0) lgkmcnt(0)
	buffer_gl1_inv
	buffer_gl0_inv
	v_cmpx_ne_u32_e32 0, v9
	s_cbranch_execz .LBB2_316
; %bb.323:                              ;   in Loop: Header=BB2_319 Depth=4
	ds_store_b32 v0, v9
	s_cbranch_execnz .LBB2_1573
; %bb.324:                              ;   in Loop: Header=BB2_319 Depth=4
	v_or_b32_e32 v30, 64, v30
	s_xor_b32 s38, exec_lo, -1
	s_branch .LBB2_316
.LBB2_325:                              ;   in Loop: Header=BB2_310 Depth=3
	s_or_b32 exec_lo, exec_lo, s31
	v_and_b32_e32 v9, 12, v30
.LBB2_326:                              ;   in Loop: Header=BB2_310 Depth=3
	s_or_b32 exec_lo, exec_lo, s29
	s_delay_alu instid0(VALU_DEP_1)
	v_cmp_eq_u32_e32 vcc_lo, 0, v9
	s_mov_b32 s36, s28
	s_mov_b32 s34, s20
	;; [unrolled: 1-line block ×4, first 2 shown]
	s_or_not1_b32 s31, vcc_lo, exec_lo
	s_mov_b32 s13, s12
	s_mov_b32 s29, s10
	;;#ASMSTART
	s_wakeup
	;;#ASMEND
.LBB2_327:                              ;   in Loop: Header=BB2_310 Depth=3
	s_or_b32 exec_lo, exec_lo, s5
	v_sub_nc_u32_e32 v2, v68, v10
	s_xor_b32 s10, s31, -1
	s_delay_alu instid0(VALU_DEP_1)
	v_min_i32_e32 v8, v8, v2
	s_and_saveexec_b32 s5, s10
	s_cbranch_execz .LBB2_342
; %bb.328:                              ;   in Loop: Header=BB2_310 Depth=3
	v_and_b32_e32 v2, 0x108, v30
	s_mov_b32 s10, s29
	s_mov_b32 s12, s13
	;; [unrolled: 1-line block ×4, first 2 shown]
	s_mov_b32 s13, exec_lo
	v_cmpx_ne_u32_e32 0x108, v2
	s_xor_b32 s13, exec_lo, s13
                                        ; implicit-def: $vgpr54_vgpr55
; %bb.329:                              ;   in Loop: Header=BB2_310 Depth=3
	v_and_b32_e32 v54, 7, v22
; %bb.330:                              ;   in Loop: Header=BB2_310 Depth=3
	s_and_not1_saveexec_b32 s13, s13
	s_cbranch_execz .LBB2_332
; %bb.331:                              ;   in Loop: Header=BB2_310 Depth=3
	v_and_b32_e32 v54, 7, v22
	v_ashrrev_i32_e32 v9, 31, v8
	s_delay_alu instid0(VALU_DEP_2) | instskip(NEXT) | instid1(VALU_DEP_2)
	v_mad_u64_u32 v[64:65], null, v54, 24, v[6:7]
	v_lshlrev_b64 v[66:67], 3, v[8:9]
	flat_store_b64 v[64:65], v[66:67] offset:8
.LBB2_332:                              ;   in Loop: Header=BB2_310 Depth=3
	s_or_b32 exec_lo, exec_lo, s13
	v_and_b32_e32 v2, 0x100, v30
	s_mov_b32 s13, -1
	s_mov_b32 s31, exec_lo
                                        ; implicit-def: $vgpr64_vgpr65
	s_delay_alu instid0(VALU_DEP_1)
	v_cmpx_ne_u32_e32 0, v2
	s_cbranch_execnz .LBB2_335
; %bb.333:                              ;   in Loop: Header=BB2_310 Depth=3
	s_or_b32 exec_lo, exec_lo, s31
	s_and_saveexec_b32 vcc_lo, s13
	s_cbranch_execnz .LBB2_338
.LBB2_334:                              ;   in Loop: Header=BB2_310 Depth=3
	s_or_b32 exec_lo, exec_lo, vcc_lo
	s_cbranch_execnz .LBB2_1517
	s_branch .LBB2_339
.LBB2_335:                              ;   in Loop: Header=BB2_310 Depth=3
	v_mad_u64_u32 v[66:67], null, v54, 24, v[6:7]
	s_mov_b32 s34, exec_lo
	s_delay_alu instid0(VALU_DEP_1) | instskip(NEXT) | instid1(VALU_DEP_1)
	v_mov_b32_e32 v2, v67
	v_mad_u64_u32 v[64:65], null, v3, 24, v[2:3]
	s_delay_alu instid0(VALU_DEP_1)
	v_mov_b32_e32 v67, v64
                                        ; implicit-def: $vgpr64_vgpr65
	flat_load_b32 v2, v[66:67]
	s_waitcnt vmcnt(0) lgkmcnt(0)
	v_cmp_ne_u32_e32 vcc_lo, 1, v2
	v_cmpx_eq_u32_e32 1, v2
	s_cbranch_execz .LBB2_337
; %bb.336:                              ;   in Loop: Header=BB2_310 Depth=3
	flat_load_b32 v64, v[66:67] offset:4 glc
	s_waitcnt vmcnt(0) lgkmcnt(0)
	v_ashrrev_i32_e32 v65, 31, v64
	s_delay_alu instid0(VALU_DEP_1)
	v_lshrrev_b64 v[64:65], 3, v[64:65]
.LBB2_337:                              ;   in Loop: Header=BB2_310 Depth=3
	s_or_b32 exec_lo, exec_lo, s34
	s_delay_alu instid0(SALU_CYCLE_1)
	s_or_not1_b32 s13, vcc_lo, exec_lo
	s_or_b32 exec_lo, exec_lo, s31
	s_and_saveexec_b32 vcc_lo, s13
	s_cbranch_execz .LBB2_334
.LBB2_338:                              ;   in Loop: Header=BB2_310 Depth=3
	v_mul_lo_u32 v2, v3, v83
	v_mul_lo_u32 v9, v54, v84
	v_mad_u64_u32 v[64:65], null, v54, v83, 0
	s_delay_alu instid0(VALU_DEP_1)
	v_add3_u32 v65, v65, v9, v2
	s_or_b32 exec_lo, exec_lo, vcc_lo
	s_cbranch_execnz .LBB2_1517
.LBB2_339:                              ;   in Loop: Header=BB2_310 Depth=3
	s_delay_alu instid0(VALU_DEP_1) | instskip(SKIP_2) | instid1(VALU_DEP_2)
	v_lshlrev_b64 v[54:55], 3, v[64:65]
	v_and_b32_e32 v2, 0x2000, v30
	s_mov_b32 s13, exec_lo
	v_add_co_u32 v54, vcc_lo, v24, v54
	s_delay_alu instid0(VALU_DEP_3)
	v_add_co_ci_u32_e32 v55, vcc_lo, v25, v55, vcc_lo
	ds_store_b64 v0, v[54:55]
	v_cmpx_ne_u32_e32 0, v2
	s_cbranch_execz .LBB2_341
; %bb.340:                              ;   in Loop: Header=BB2_310 Depth=3
	ds_load_b64 v[54:55], v0 offset:584
	s_waitcnt lgkmcnt(0)
	v_add_co_u32 v54, vcc_lo, v54, 1
	v_add_co_ci_u32_e32 v55, vcc_lo, 0, v55, vcc_lo
	ds_store_b64 v0, v[54:55] offset:584
.LBB2_341:                              ;   in Loop: Header=BB2_310 Depth=3
	s_or_b32 exec_lo, exec_lo, s13
	v_add_co_u32 v22, vcc_lo, v22, 2
	v_add_co_ci_u32_e32 v23, vcc_lo, 0, v23, vcc_lo
	s_mov_b32 s36, s29
	s_mov_b32 s34, s28
	s_mov_b32 s13, s12
	s_mov_b32 s29, s10
.LBB2_342:                              ;   in Loop: Header=BB2_310 Depth=3
	s_or_b32 exec_lo, exec_lo, s5
	v_writelane_b32 v42, s13, 12
	v_writelane_b32 v42, s15, 13
	s_and_saveexec_b32 s5, s3
	s_cbranch_execz .LBB2_364
; %bb.343:                              ;   in Loop: Header=BB2_310 Depth=3
	s_mov_b32 s15, s29
	s_mov_b32 s10, s20
	;; [unrolled: 1-line block ×5, first 2 shown]
	s_and_saveexec_b32 s20, s4
	s_delay_alu instid0(SALU_CYCLE_1)
	s_xor_b32 s4, exec_lo, s20
	s_cbranch_execz .LBB2_361
; %bb.344:                              ;   in Loop: Header=BB2_310 Depth=3
	s_and_saveexec_b32 s20, s1
	s_cbranch_execz .LBB2_360
; %bb.345:                              ;   in Loop: Header=BB2_310 Depth=3
	s_mov_b32 s29, exec_lo
	s_mov_b32 s28, exec_lo
	v_mbcnt_lo_u32_b32 v2, s29, 0
	s_waitcnt lgkmcnt(0)
	s_waitcnt_vscnt null, 0x0
	buffer_gl1_inv
	buffer_gl0_inv
	v_cmpx_eq_u32_e32 0, v2
	s_cbranch_execz .LBB2_347
; %bb.346:                              ;   in Loop: Header=BB2_310 Depth=3
	s_bcnt1_i32_b32 s29, s29
	s_delay_alu instid0(SALU_CYCLE_1)
	v_mov_b32_e32 v2, s29
	ds_add_u64 v0, v[2:3]
	s_cbranch_execnz .LBB2_1629
.LBB2_347:                              ;   in Loop: Header=BB2_310 Depth=3
	s_or_b32 exec_lo, exec_lo, s28
	s_cbranch_execnz .LBB2_1595
; %bb.348:                              ;   in Loop: Header=BB2_310 Depth=3
	ds_load_b64 v[54:55], v0
	v_add_co_u32 v12, vcc_lo, v12, v85
	v_add_co_ci_u32_e32 v13, vcc_lo, 0, v13, vcc_lo
	s_mov_b32 s28, exec_lo
	s_waitcnt lgkmcnt(0)
	s_delay_alu instid0(VALU_DEP_1)
	v_cmpx_lt_u64_e64 v[54:55], v[12:13]
	s_cbranch_execz .LBB2_359
; %bb.349:                              ;   in Loop: Header=BB2_310 Depth=3
	s_mov_b32 s29, 0
	s_mov_b32 s37, 0
                                        ; implicit-def: $sgpr34
                                        ; implicit-def: $sgpr36
	s_branch .LBB2_351
.LBB2_350:                              ;   in Loop: Header=BB2_351 Depth=4
	s_or_b32 exec_lo, exec_lo, s39
	s_delay_alu instid0(SALU_CYCLE_1) | instskip(NEXT) | instid1(SALU_CYCLE_1)
	s_and_b32 vcc_lo, exec_lo, vcc_lo
	s_or_b32 s29, vcc_lo, s29
	s_and_not1_b32 vcc_lo, s34, exec_lo
	s_and_b32 s34, s36, exec_lo
	s_delay_alu instid0(SALU_CYCLE_1)
	s_or_b32 s34, vcc_lo, s34
	s_and_not1_b32 exec_lo, exec_lo, s29
	s_cbranch_execz .LBB2_357
.LBB2_351:                              ;   Parent Loop BB2_51 Depth=1
                                        ;     Parent Loop BB2_308 Depth=2
                                        ;       Parent Loop BB2_310 Depth=3
                                        ; =>      This Inner Loop Header: Depth=4
	s_add_i32 s37, s37, 1
                                        ; implicit-def: $sgpr39
	s_delay_alu instid0(SALU_CYCLE_1) | instskip(SKIP_1) | instid1(SALU_CYCLE_1)
	s_cmpk_lg_i32 s37, 0x2710
	s_cselect_b32 s38, -1, 0
	s_and_b32 vcc_lo, exec_lo, s38
	s_cbranch_vccz .LBB2_355
.LBB2_352:                              ;   in Loop: Header=BB2_351 Depth=4
	s_and_not1_b32 s36, s36, exec_lo
	s_and_b32 s39, s39, exec_lo
	s_mov_b32 vcc_lo, -1
	s_or_b32 s36, s36, s39
	s_and_saveexec_b32 s39, s38
	s_cbranch_execz .LBB2_350
; %bb.353:                              ;   in Loop: Header=BB2_351 Depth=4
	s_sleep 1
	s_cbranch_execnz .LBB2_1677
; %bb.354:                              ;   in Loop: Header=BB2_351 Depth=4
	ds_load_b64 v[54:55], v0
	s_and_not1_b32 s36, s36, exec_lo
	s_waitcnt lgkmcnt(0)
	v_cmp_ge_u64_e32 vcc_lo, v[54:55], v[12:13]
	s_or_not1_b32 vcc_lo, vcc_lo, exec_lo
	s_branch .LBB2_350
.LBB2_355:                              ;   in Loop: Header=BB2_351 Depth=4
	s_cbranch_execnz .LBB2_1685
; %bb.356:                              ;   in Loop: Header=BB2_351 Depth=4
	ds_load_b64 v[54:55], v0
	s_and_not1_b32 s38, s38, exec_lo
	s_mov_b32 s37, 0
	s_mov_b32 s39, -1
	s_waitcnt lgkmcnt(0)
	flat_load_b32 v2, v[54:55] glc
	s_waitcnt vmcnt(0) lgkmcnt(0)
	buffer_gl1_inv
	buffer_gl0_inv
	v_cmp_eq_u32_e32 vcc_lo, 0, v2
	s_and_b32 vcc_lo, vcc_lo, exec_lo
	s_delay_alu instid0(SALU_CYCLE_1)
	s_or_b32 s38, s38, vcc_lo
	s_branch .LBB2_352
.LBB2_357:                              ;   in Loop: Header=BB2_310 Depth=3
	s_or_b32 exec_lo, exec_lo, s29
	s_and_saveexec_b32 s29, s34
	s_delay_alu instid0(SALU_CYCLE_1)
	s_xor_b32 s29, exec_lo, s29
	s_cbranch_execz .LBB2_359
; %bb.358:                              ;   in Loop: Header=BB2_310 Depth=3
	ds_store_b32 v0, v118
	s_cbranch_execnz .LBB2_1887
.LBB2_359:                              ;   in Loop: Header=BB2_310 Depth=3
	s_or_b32 exec_lo, exec_lo, s28
	;;#ASMSTART
	s_wakeup
	;;#ASMEND
.LBB2_360:                              ;   in Loop: Header=BB2_310 Depth=3
	s_or_b32 exec_lo, exec_lo, s20
.LBB2_361:                              ;   in Loop: Header=BB2_310 Depth=3
	s_and_not1_saveexec_b32 s4, s4
	s_cbranch_execz .LBB2_363
; %bb.362:                              ;   in Loop: Header=BB2_310 Depth=3
	s_waitcnt lgkmcnt(0)
	s_waitcnt_vscnt null, 0x0
	buffer_gl1_inv
	buffer_gl0_inv
	s_barrier
.LBB2_363:                              ;   in Loop: Header=BB2_310 Depth=3
	s_or_b32 exec_lo, exec_lo, s4
	s_mov_b32 s36, s13
	s_mov_b32 s34, s12
	;; [unrolled: 1-line block ×5, first 2 shown]
.LBB2_364:                              ;   in Loop: Header=BB2_310 Depth=3
	s_mov_b32 s31, s36
	s_or_b32 exec_lo, exec_lo, s5
	s_cbranch_execnz .LBB2_1496
; %bb.365:                              ;   in Loop: Header=BB2_310 Depth=3
	ds_load_b32 v11, v0
	v_and_b32_e32 v2, 0x4000, v30
	v_writelane_b32 v42, s2, 14
	s_xor_b32 s2, s2, -1
	s_mov_b32 s12, s20
	s_mov_b32 s10, s14
	v_cmp_ne_u32_e32 vcc_lo, 0, v2
	s_and_b32 s2, s2, vcc_lo
	s_delay_alu instid0(SALU_CYCLE_1)
	s_and_saveexec_b32 s5, s2
	s_cbranch_execz .LBB2_387
; %bb.366:                              ;   in Loop: Header=BB2_310 Depth=3
	s_and_saveexec_b32 s2, s4
	s_delay_alu instid0(SALU_CYCLE_1)
	s_xor_b32 s2, exec_lo, s2
	s_cbranch_execz .LBB2_384
; %bb.367:                              ;   in Loop: Header=BB2_310 Depth=3
	s_and_saveexec_b32 s13, s1
	s_cbranch_execz .LBB2_383
; %bb.368:                              ;   in Loop: Header=BB2_310 Depth=3
	s_mov_b32 s15, exec_lo
	s_mov_b32 s14, exec_lo
	v_mbcnt_lo_u32_b32 v2, s15, 0
	s_waitcnt lgkmcnt(0)
	s_waitcnt_vscnt null, 0x0
	buffer_gl1_inv
	buffer_gl0_inv
	v_cmpx_eq_u32_e32 0, v2
	s_cbranch_execz .LBB2_370
; %bb.369:                              ;   in Loop: Header=BB2_310 Depth=3
	s_bcnt1_i32_b32 s15, s15
	s_delay_alu instid0(SALU_CYCLE_1)
	v_mov_b32_e32 v2, s15
	ds_add_u64 v0, v[2:3]
	s_cbranch_execnz .LBB2_1661
.LBB2_370:                              ;   in Loop: Header=BB2_310 Depth=3
	s_or_b32 exec_lo, exec_lo, s14
	s_cbranch_execnz .LBB2_1651
; %bb.371:                              ;   in Loop: Header=BB2_310 Depth=3
	ds_load_b64 v[54:55], v0
	v_add_co_u32 v12, vcc_lo, v12, v85
	v_add_co_ci_u32_e32 v13, vcc_lo, 0, v13, vcc_lo
	s_mov_b32 s14, exec_lo
	s_waitcnt lgkmcnt(0)
	s_delay_alu instid0(VALU_DEP_1)
	v_cmpx_lt_u64_e64 v[54:55], v[12:13]
	s_cbranch_execz .LBB2_382
; %bb.372:                              ;   in Loop: Header=BB2_310 Depth=3
	s_mov_b32 s15, 0
	s_mov_b32 s36, 0
                                        ; implicit-def: $sgpr20
                                        ; implicit-def: $sgpr28
	s_branch .LBB2_374
.LBB2_373:                              ;   in Loop: Header=BB2_374 Depth=4
	s_or_b32 exec_lo, exec_lo, s38
	s_delay_alu instid0(SALU_CYCLE_1) | instskip(NEXT) | instid1(SALU_CYCLE_1)
	s_and_b32 vcc_lo, exec_lo, vcc_lo
	s_or_b32 s15, vcc_lo, s15
	s_and_not1_b32 s20, s20, exec_lo
	s_and_b32 vcc_lo, s28, exec_lo
	s_delay_alu instid0(SALU_CYCLE_1)
	s_or_b32 s20, s20, vcc_lo
	s_and_not1_b32 exec_lo, exec_lo, s15
	s_cbranch_execz .LBB2_380
.LBB2_374:                              ;   Parent Loop BB2_51 Depth=1
                                        ;     Parent Loop BB2_308 Depth=2
                                        ;       Parent Loop BB2_310 Depth=3
                                        ; =>      This Inner Loop Header: Depth=4
	s_add_i32 s36, s36, 1
                                        ; implicit-def: $sgpr38
	s_delay_alu instid0(SALU_CYCLE_1) | instskip(SKIP_1) | instid1(SALU_CYCLE_1)
	s_cmpk_lg_i32 s36, 0x2710
	s_cselect_b32 s37, -1, 0
	s_and_b32 vcc_lo, exec_lo, s37
	s_cbranch_vccz .LBB2_378
.LBB2_375:                              ;   in Loop: Header=BB2_374 Depth=4
	s_and_not1_b32 s28, s28, exec_lo
	s_and_b32 s38, s38, exec_lo
	s_mov_b32 vcc_lo, -1
	s_or_b32 s28, s28, s38
	s_and_saveexec_b32 s38, s37
	s_cbranch_execz .LBB2_373
; %bb.376:                              ;   in Loop: Header=BB2_374 Depth=4
	s_sleep 1
	s_cbranch_execnz .LBB2_1725
; %bb.377:                              ;   in Loop: Header=BB2_374 Depth=4
	ds_load_b64 v[54:55], v0
	s_and_not1_b32 s28, s28, exec_lo
	s_waitcnt lgkmcnt(0)
	v_cmp_ge_u64_e32 vcc_lo, v[54:55], v[12:13]
	s_or_not1_b32 vcc_lo, vcc_lo, exec_lo
	s_branch .LBB2_373
.LBB2_378:                              ;   in Loop: Header=BB2_374 Depth=4
	s_cbranch_execnz .LBB2_1737
; %bb.379:                              ;   in Loop: Header=BB2_374 Depth=4
	ds_load_b64 v[54:55], v0
	s_and_not1_b32 s37, s37, exec_lo
	s_mov_b32 s36, 0
	s_mov_b32 s38, -1
	s_waitcnt lgkmcnt(0)
	flat_load_b32 v2, v[54:55] glc
	s_waitcnt vmcnt(0) lgkmcnt(0)
	buffer_gl1_inv
	buffer_gl0_inv
	v_cmp_eq_u32_e32 vcc_lo, 0, v2
	s_and_b32 vcc_lo, vcc_lo, exec_lo
	s_delay_alu instid0(SALU_CYCLE_1)
	s_or_b32 s37, s37, vcc_lo
	s_branch .LBB2_375
.LBB2_380:                              ;   in Loop: Header=BB2_310 Depth=3
	s_or_b32 exec_lo, exec_lo, s15
	s_and_saveexec_b32 s15, s20
	s_delay_alu instid0(SALU_CYCLE_1)
	s_xor_b32 s15, exec_lo, s15
	s_cbranch_execz .LBB2_382
; %bb.381:                              ;   in Loop: Header=BB2_310 Depth=3
	ds_store_b32 v0, v118
	s_cbranch_execnz .LBB2_1919
.LBB2_382:                              ;   in Loop: Header=BB2_310 Depth=3
	s_or_b32 exec_lo, exec_lo, s14
	;;#ASMSTART
	s_wakeup
	;;#ASMEND
.LBB2_383:                              ;   in Loop: Header=BB2_310 Depth=3
	s_or_b32 exec_lo, exec_lo, s13
.LBB2_384:                              ;   in Loop: Header=BB2_310 Depth=3
	s_and_not1_saveexec_b32 s2, s2
	s_cbranch_execz .LBB2_386
; %bb.385:                              ;   in Loop: Header=BB2_310 Depth=3
	s_waitcnt lgkmcnt(0)
	s_waitcnt_vscnt null, 0x0
	buffer_gl1_inv
	buffer_gl0_inv
	s_barrier
.LBB2_386:                              ;   in Loop: Header=BB2_310 Depth=3
	s_or_b32 exec_lo, exec_lo, s2
.LBB2_387:                              ;   in Loop: Header=BB2_310 Depth=3
	s_delay_alu instid0(SALU_CYCLE_1)
	s_or_b32 exec_lo, exec_lo, s5
	s_cbranch_execnz .LBB2_1539
; %bb.388:                              ;   in Loop: Header=BB2_310 Depth=3
	ds_load_b64 v[54:55], v0
	v_mov_b32_e32 v9, 0
	s_waitcnt lgkmcnt(0)
	v_cmp_eq_u64_e32 vcc_lo, 0, v[54:55]
	s_or_b32 s2, vcc_lo, vcc_lo
	s_delay_alu instid0(SALU_CYCLE_1)
	s_and_b32 vcc_lo, exec_lo, s2
	s_cbranch_vccnz .LBB2_427
; %bb.389:                              ;   in Loop: Header=BB2_310 Depth=3
	s_cbranch_execnz .LBB2_1593
; %bb.390:                              ;   in Loop: Header=BB2_310 Depth=3
	ds_load_b64 v[54:55], v0
	s_mov_b32 s2, -1
	s_mov_b32 s5, exec_lo
	v_readlane_b32 s13, v42, 2
	s_delay_alu instid0(VALU_DEP_1) | instskip(NEXT) | instid1(SALU_CYCLE_1)
	s_and_b32 s13, s5, s13
	s_mov_b32 exec_lo, s13
	s_cbranch_execz .LBB2_392
; %bb.391:                              ;   in Loop: Header=BB2_310 Depth=3
	ds_load_b32 v2, v0 offset:720
	s_waitcnt lgkmcnt(0)
	v_and_b32_e32 v2, 15, v2
	s_delay_alu instid0(VALU_DEP_1)
	v_cmp_eq_u32_e32 vcc_lo, 0, v2
	s_or_not1_b32 s2, vcc_lo, exec_lo
.LBB2_392:                              ;   in Loop: Header=BB2_310 Depth=3
	s_or_b32 exec_lo, exec_lo, s5
	s_and_saveexec_b32 s5, vcc_hi
	s_cbranch_execz .LBB2_394
; %bb.393:                              ;   in Loop: Header=BB2_310 Depth=3
	ds_load_b32 v2, v0 offset:784
	s_waitcnt lgkmcnt(0)
	v_and_b32_e32 v2, 15, v2
	s_delay_alu instid0(VALU_DEP_1) | instskip(SKIP_3) | instid1(SALU_CYCLE_1)
	v_cmp_eq_u32_e32 vcc_lo, 0, v2
	s_and_b32 s13, s2, vcc_lo
	s_and_not1_b32 s2, s2, exec_lo
	s_and_b32 s13, s13, exec_lo
	s_or_b32 s2, s2, s13
.LBB2_394:                              ;   in Loop: Header=BB2_310 Depth=3
	s_or_b32 exec_lo, exec_lo, s5
	v_cmp_eq_u32_e32 vcc_lo, 0, v11
	s_xor_b32 s2, s2, -1
	s_waitcnt lgkmcnt(0)
	v_and_b32_e32 v54, 1, v54
	v_cndmask_b32_e64 v2, 0, 1, s2
	;;#ASMSTART
	;;#ASMEND
	v_cndmask_b32_e32 v9, 0, v8, vcc_lo
	s_delay_alu instid0(VALU_DEP_2) | instskip(SKIP_1) | instid1(VALU_DEP_2)
	v_cmp_ne_u32_e32 vcc_lo, 0, v2
	s_mov_b32 s2, -1
	v_lshlrev_b32_e32 v2, 3, v9
	s_cbranch_vccz .LBB2_396
; %bb.395:                              ;   in Loop: Header=BB2_310 Depth=3
	v_cmp_eq_u32_e64 s13, 1, v54
	s_mov_b32 s2, 0
	s_mov_b32 s5, -1
	s_mov_b32 s14, 0
	s_branch .LBB2_397
.LBB2_396:                              ;   in Loop: Header=BB2_310 Depth=3
	s_mov_b32 s5, 0
                                        ; implicit-def: $sgpr14
                                        ; implicit-def: $sgpr13
.LBB2_397:                              ;   in Loop: Header=BB2_310 Depth=3
	s_and_not1_b32 vcc_lo, exec_lo, s2
	s_cbranch_vccnz .LBB2_413
; %bb.398:                              ;   in Loop: Header=BB2_310 Depth=3
	v_ashrrev_i32_e32 v11, 31, v2
	v_cmp_eq_u32_e64 s13, 1, v54
	s_mov_b32 s2, exec_lo
	s_delay_alu instid0(VALU_DEP_2) | instskip(NEXT) | instid1(VALU_DEP_1)
	v_lshrrev_b32_e32 v11, 23, v11
	v_add_nc_u32_e32 v11, v2, v11
	s_delay_alu instid0(VALU_DEP_1) | instskip(SKIP_2) | instid1(VALU_DEP_3)
	v_and_b32_e32 v70, 0xfffffe00, v11
	v_ashrrev_i32_e32 v55, 9, v11
	v_sub_nc_u32_e32 v11, v2, v0
	v_sub_nc_u32_e32 v80, v2, v70
	s_delay_alu instid0(VALU_DEP_1) | instskip(NEXT) | instid1(VALU_DEP_4)
	v_cmp_lt_i32_e32 vcc_lo, 15, v80
	v_add_co_ci_u32_e64 v81, s14, v55, v116, vcc_lo
	s_delay_alu instid0(VALU_DEP_4)
	v_cmpx_lt_i32_e32 15, v11
	s_cbranch_execz .LBB2_403
; %bb.399:                              ;   in Loop: Header=BB2_310 Depth=3
	s_cbranch_execnz .LBB2_1715
; %bb.400:                              ;   in Loop: Header=BB2_310 Depth=3
	ds_load_b128 v[64:67], v0
	ds_load_b64 v[128:129], v0
	s_mov_b32 s20, 0
	s_waitcnt lgkmcnt(1)
	v_add_co_u32 v54, s14, v64, v0
	s_delay_alu instid0(VALU_DEP_1) | instskip(SKIP_1) | instid1(VALU_DEP_1)
	v_add_co_ci_u32_e64 v55, s14, v65, v117, s14
	v_add_co_u32 v64, s14, v66, v0
	v_add_co_ci_u32_e64 v65, s14, v67, v117, s14
	s_waitcnt lgkmcnt(0)
	v_add_co_u32 v66, s14, v128, v0
	s_delay_alu instid0(VALU_DEP_1)
	v_add_co_ci_u32_e64 v67, s14, v129, v117, s14
.LBB2_401:                              ;   Parent Loop BB2_51 Depth=1
                                        ;     Parent Loop BB2_308 Depth=2
                                        ;       Parent Loop BB2_310 Depth=3
                                        ; =>      This Inner Loop Header: Depth=4
	global_load_b128 v[128:131], v[64:65], off slc dlc
	global_load_b128 v[132:135], v[54:55], off slc dlc
	v_add_co_u32 v54, s14, v54, v103
	v_sub_nc_u32_e32 v11, v11, v96
	v_add_co_ci_u32_e64 v55, s14, v55, v112, s14
	v_add_co_u32 v64, s14, v64, v103
	s_delay_alu instid0(VALU_DEP_1) | instskip(NEXT) | instid1(VALU_DEP_4)
	v_add_co_ci_u32_e64 v65, s14, v65, v112, s14
	v_cmp_gt_i32_e64 s14, 16, v11
	v_sub_nc_u32_e32 v81, v81, v85
	s_delay_alu instid0(VALU_DEP_2)
	s_or_b32 s20, s14, s20
	s_waitcnt vmcnt(1)
	v_max_f64 v[128:129], v[128:129], v[128:129]
	s_waitcnt vmcnt(0)
	v_max_f64 v[132:133], v[132:133], v[132:133]
	v_max_f64 v[130:131], v[130:131], v[130:131]
	;; [unrolled: 1-line block ×3, first 2 shown]
	s_delay_alu instid0(VALU_DEP_3) | instskip(SKIP_1) | instid1(VALU_DEP_3)
	v_min_f64 v[144:145], v[132:133], v[128:129]
	v_max_f64 v[128:129], v[132:133], v[128:129]
	v_min_f64 v[132:133], v[134:135], v[130:131]
	v_max_f64 v[130:131], v[134:135], v[130:131]
	s_delay_alu instid0(VALU_DEP_3) | instskip(NEXT) | instid1(VALU_DEP_4)
	v_cndmask_b32_e64 v129, v145, v129, s13
	v_cndmask_b32_e64 v128, v144, v128, s13
	s_delay_alu instid0(VALU_DEP_3) | instskip(NEXT) | instid1(VALU_DEP_4)
	v_cndmask_b32_e64 v131, v133, v131, s13
	v_cndmask_b32_e64 v130, v132, v130, s13
	global_store_b128 v[66:67], v[128:131], off glc slc dlc
	v_add_co_u32 v66, s15, v66, v103
	s_delay_alu instid0(VALU_DEP_1)
	v_add_co_ci_u32_e64 v67, s15, v67, v112, s15
	s_and_not1_b32 exec_lo, exec_lo, s20
	s_cbranch_execnz .LBB2_401
; %bb.402:                              ;   in Loop: Header=BB2_310 Depth=3
	s_or_b32 exec_lo, exec_lo, s20
.LBB2_403:                              ;   in Loop: Header=BB2_310 Depth=3
	s_delay_alu instid0(SALU_CYCLE_1) | instskip(SKIP_2) | instid1(VALU_DEP_1)
	s_or_b32 exec_lo, exec_lo, s2
	v_and_b32_e32 v55, 8, v2
	s_mov_b32 s36, exec_lo
                                        ; implicit-def: $vgpr2
                                        ; implicit-def: $vgpr11
                                        ; implicit-def: $vgpr69
                                        ; implicit-def: $vgpr54
	v_cndmask_b32_e32 v71, v80, v55, vcc_lo
	s_delay_alu instid0(VALU_DEP_1)
	v_cmpx_ne_u32_e32 0, v71
	s_cbranch_execz .LBB2_412
; %bb.404:                              ;   in Loop: Header=BB2_310 Depth=3
	v_cmp_lt_i32_e64 s14, 0, v81
	v_ashrrev_i32_e32 v54, 31, v71
	v_sub_nc_u32_e32 v55, v80, v55
	s_mov_b32 s2, exec_lo
	s_delay_alu instid0(VALU_DEP_3) | instskip(NEXT) | instid1(VALU_DEP_3)
	v_cndmask_b32_e64 v2, 0, v85, s14
	v_lshrrev_b32_e32 v54, 23, v54
	s_delay_alu instid0(VALU_DEP_3) | instskip(NEXT) | instid1(VALU_DEP_3)
	v_cndmask_b32_e32 v55, 0, v55, vcc_lo
	v_sub_nc_u32_e32 v2, v2, v81
	s_delay_alu instid0(VALU_DEP_3) | instskip(NEXT) | instid1(VALU_DEP_3)
	v_add_nc_u32_e32 v54, v71, v54
	v_add_nc_u32_e32 v70, v55, v70
	s_delay_alu instid0(VALU_DEP_3) | instskip(NEXT) | instid1(VALU_DEP_3)
	v_lshl_add_u32 v2, v2, 5, v87
	v_and_b32_e32 v81, 0xfffffe00, v54
	v_ashrrev_i32_e32 v54, 9, v54
	s_delay_alu instid0(VALU_DEP_3) | instskip(NEXT) | instid1(VALU_DEP_3)
	v_ashrrev_i32_e32 v11, 31, v2
	v_sub_nc_u32_e32 v80, v71, v81
	s_delay_alu instid0(VALU_DEP_2) | instskip(NEXT) | instid1(VALU_DEP_2)
	v_lshrrev_b32_e32 v11, 27, v11
	v_cmp_lt_i32_e32 vcc_lo, 15, v80
	s_delay_alu instid0(VALU_DEP_2) | instskip(SKIP_1) | instid1(VALU_DEP_2)
	v_add_nc_u32_e32 v11, v2, v11
	v_add_co_ci_u32_e64 v54, s14, 0, v54, vcc_lo
	v_and_b32_e32 v64, 0xffffffe0, v11
	s_delay_alu instid0(VALU_DEP_1) | instskip(SKIP_1) | instid1(VALU_DEP_2)
	v_sub_nc_u32_e32 v119, v2, v64
	v_ashrrev_i32_e32 v64, 5, v11
	v_lshlrev_b32_e32 v2, 4, v119
	s_delay_alu instid0(VALU_DEP_2) | instskip(NEXT) | instid1(VALU_DEP_2)
	v_sub_nc_u32_e32 v128, v54, v64
	v_lshl_add_u32 v11, v64, 9, v2
	s_delay_alu instid0(VALU_DEP_1) | instskip(NEXT) | instid1(VALU_DEP_1)
	v_sub_nc_u32_e32 v2, v71, v11
	v_cmpx_lt_i32_e32 15, v2
	s_cbranch_execz .LBB2_409
; %bb.405:                              ;   in Loop: Header=BB2_310 Depth=3
	s_cbranch_execnz .LBB2_1777
; %bb.406:                              ;   in Loop: Header=BB2_310 Depth=3
	ds_load_b128 v[64:67], v0
	ds_load_b64 v[129:130], v0
	v_add_nc_u32_e32 v11, v11, v70
	s_mov_b32 s20, 0
	s_delay_alu instid0(VALU_DEP_1) | instskip(SKIP_2) | instid1(VALU_DEP_1)
	v_ashrrev_i32_e32 v69, 31, v11
	s_waitcnt lgkmcnt(1)
	v_add_co_u32 v54, s14, v64, v11
	v_add_co_ci_u32_e64 v55, s14, v65, v69, s14
	v_add_co_u32 v64, s14, v66, v11
	s_delay_alu instid0(VALU_DEP_1) | instskip(SKIP_2) | instid1(VALU_DEP_1)
	v_add_co_ci_u32_e64 v65, s14, v67, v69, s14
	s_waitcnt lgkmcnt(0)
	v_add_co_u32 v66, s14, v129, v11
	v_add_co_ci_u32_e64 v67, s14, v130, v69, s14
.LBB2_407:                              ;   Parent Loop BB2_51 Depth=1
                                        ;     Parent Loop BB2_308 Depth=2
                                        ;       Parent Loop BB2_310 Depth=3
                                        ; =>      This Inner Loop Header: Depth=4
	global_load_b128 v[129:132], v[64:65], off slc dlc
	global_load_b128 v[144:147], v[54:55], off slc dlc
	v_add_co_u32 v54, s14, v54, v103
	v_sub_nc_u32_e32 v2, v2, v96
	v_add_co_ci_u32_e64 v55, s14, v55, v112, s14
	v_add_co_u32 v64, s14, v64, v103
	s_delay_alu instid0(VALU_DEP_1) | instskip(NEXT) | instid1(VALU_DEP_4)
	v_add_co_ci_u32_e64 v65, s14, v65, v112, s14
	v_cmp_gt_i32_e64 s14, 16, v2
	v_sub_nc_u32_e32 v128, v128, v85
	s_delay_alu instid0(VALU_DEP_2)
	s_or_b32 s20, s14, s20
	s_waitcnt vmcnt(1)
	v_max_f64 v[129:130], v[129:130], v[129:130]
	s_waitcnt vmcnt(0)
	v_max_f64 v[133:134], v[144:145], v[144:145]
	v_max_f64 v[131:132], v[131:132], v[131:132]
	;; [unrolled: 1-line block ×3, first 2 shown]
	s_delay_alu instid0(VALU_DEP_3) | instskip(SKIP_1) | instid1(VALU_DEP_3)
	v_min_f64 v[146:147], v[133:134], v[129:130]
	v_max_f64 v[129:130], v[133:134], v[129:130]
	v_min_f64 v[133:134], v[144:145], v[131:132]
	v_max_f64 v[131:132], v[144:145], v[131:132]
	s_delay_alu instid0(VALU_DEP_3) | instskip(NEXT) | instid1(VALU_DEP_4)
	v_cndmask_b32_e64 v130, v147, v130, s13
	v_cndmask_b32_e64 v129, v146, v129, s13
	s_delay_alu instid0(VALU_DEP_3) | instskip(NEXT) | instid1(VALU_DEP_4)
	v_cndmask_b32_e64 v132, v134, v132, s13
	v_cndmask_b32_e64 v131, v133, v131, s13
	global_store_b128 v[66:67], v[129:132], off glc slc dlc
	v_add_co_u32 v66, s15, v66, v103
	s_delay_alu instid0(VALU_DEP_1)
	v_add_co_ci_u32_e64 v67, s15, v67, v112, s15
	s_and_not1_b32 exec_lo, exec_lo, s20
	s_cbranch_execnz .LBB2_407
; %bb.408:                              ;   in Loop: Header=BB2_310 Depth=3
	s_or_b32 exec_lo, exec_lo, s20
.LBB2_409:                              ;   in Loop: Header=BB2_310 Depth=3
	s_delay_alu instid0(SALU_CYCLE_1) | instskip(SKIP_3) | instid1(VALU_DEP_1)
	s_or_b32 exec_lo, exec_lo, s2
	v_and_b32_e32 v55, 8, v71
	s_mov_b32 s15, s5
	s_mov_b32 s2, exec_lo
                                        ; implicit-def: $vgpr11
                                        ; implicit-def: $vgpr69
                                        ; implicit-def: $vgpr54
	v_cndmask_b32_e32 v2, v80, v55, vcc_lo
	s_delay_alu instid0(VALU_DEP_1)
	v_cmpx_ne_u32_e32 0, v2
	s_cbranch_execz .LBB2_411
; %bb.410:                              ;   in Loop: Header=BB2_310 Depth=3
	v_cmp_lt_i32_e64 s14, 0, v128
	v_sub_nc_u32_e32 v54, v80, v55
	s_or_b32 s15, s5, exec_lo
	s_delay_alu instid0(VALU_DEP_2) | instskip(NEXT) | instid1(VALU_DEP_1)
	v_cndmask_b32_e64 v11, 0, v85, s14
	v_sub_nc_u32_e32 v11, v11, v128
	s_delay_alu instid0(VALU_DEP_1) | instskip(NEXT) | instid1(VALU_DEP_1)
	v_lshl_add_u32 v64, v11, 5, v119
	v_ashrrev_i32_e32 v11, 31, v64
	s_delay_alu instid0(VALU_DEP_1) | instskip(NEXT) | instid1(VALU_DEP_1)
	v_lshrrev_b32_e32 v11, 27, v11
	v_add_nc_u32_e32 v55, v64, v11
	v_cndmask_b32_e32 v11, 0, v54, vcc_lo
	s_delay_alu instid0(VALU_DEP_2) | instskip(NEXT) | instid1(VALU_DEP_2)
	v_and_b32_e32 v65, 0xffffffe0, v55
	v_add3_u32 v11, v81, v70, v11
	v_ashrrev_i32_e32 v54, 5, v55
	s_delay_alu instid0(VALU_DEP_3)
	v_sub_nc_u32_e32 v69, v64, v65
.LBB2_411:                              ;   in Loop: Header=BB2_310 Depth=3
	s_or_b32 exec_lo, exec_lo, s2
	s_delay_alu instid0(SALU_CYCLE_1) | instskip(SKIP_1) | instid1(SALU_CYCLE_1)
	s_and_not1_b32 s2, s5, exec_lo
	s_and_b32 s5, s15, exec_lo
	s_or_b32 s5, s2, s5
.LBB2_412:                              ;   in Loop: Header=BB2_310 Depth=3
	s_or_b32 exec_lo, exec_lo, s36
	s_branch .LBB2_414
.LBB2_413:                              ;   in Loop: Header=BB2_310 Depth=3
	v_dual_mov_b32 v11, s14 :: v_dual_mov_b32 v54, v86
	v_mov_b32_e32 v69, v87
.LBB2_414:                              ;   in Loop: Header=BB2_310 Depth=3
	s_and_saveexec_b32 s36, s5
	s_cbranch_execz .LBB2_426
; %bb.415:                              ;   in Loop: Header=BB2_310 Depth=3
	v_ashrrev_i32_e32 v55, 31, v2
	s_delay_alu instid0(VALU_DEP_2) | instskip(SKIP_1) | instid1(VALU_DEP_2)
	v_lshlrev_b32_e32 v64, 3, v69
	s_mov_b32 s2, exec_lo
	v_lshrrev_b32_e32 v55, 24, v55
	s_delay_alu instid0(VALU_DEP_1) | instskip(NEXT) | instid1(VALU_DEP_1)
	v_add_nc_u32_e32 v55, v2, v55
	v_and_b32_e32 v70, 0xffffff00, v55
	v_ashrrev_i32_e32 v65, 8, v55
	v_lshl_add_u32 v55, v54, 8, v64
	s_delay_alu instid0(VALU_DEP_3) | instskip(NEXT) | instid1(VALU_DEP_3)
	v_sub_nc_u32_e32 v71, v2, v70
	v_sub_nc_u32_e32 v54, v65, v54
	s_delay_alu instid0(VALU_DEP_3) | instskip(NEXT) | instid1(VALU_DEP_3)
	v_sub_nc_u32_e32 v81, v2, v55
	v_cmp_lt_i32_e32 vcc_lo, 7, v71
	s_delay_alu instid0(VALU_DEP_3) | instskip(NEXT) | instid1(VALU_DEP_3)
	v_add_co_ci_u32_e64 v80, s14, 0, v54, vcc_lo
	v_cmpx_lt_i32_e32 7, v81
	s_cbranch_execz .LBB2_420
; %bb.416:                              ;   in Loop: Header=BB2_310 Depth=3
	s_cbranch_execnz .LBB2_1727
; %bb.417:                              ;   in Loop: Header=BB2_310 Depth=3
	ds_load_b128 v[64:67], v0
	ds_load_b64 v[128:129], v0
	v_add_nc_u32_e32 v119, v55, v11
	s_mov_b32 s5, 0
	s_delay_alu instid0(VALU_DEP_1) | instskip(SKIP_2) | instid1(VALU_DEP_1)
	v_ashrrev_i32_e32 v130, 31, v119
	s_waitcnt lgkmcnt(1)
	v_add_co_u32 v54, s14, v64, v119
	v_add_co_ci_u32_e64 v55, s14, v65, v130, s14
	v_add_co_u32 v64, s14, v66, v119
	s_delay_alu instid0(VALU_DEP_1) | instskip(SKIP_2) | instid1(VALU_DEP_1)
	v_add_co_ci_u32_e64 v65, s14, v67, v130, s14
	s_waitcnt lgkmcnt(0)
	v_add_co_u32 v66, s14, v128, v119
	v_add_co_ci_u32_e64 v67, s14, v129, v130, s14
	s_set_inst_prefetch_distance 0x1
.LBB2_418:                              ;   Parent Loop BB2_51 Depth=1
                                        ;     Parent Loop BB2_308 Depth=2
                                        ;       Parent Loop BB2_310 Depth=3
                                        ; =>      This Inner Loop Header: Depth=4
	flat_load_b64 v[128:129], v[64:65] slc dlc
	flat_load_b64 v[130:131], v[54:55] slc dlc
	v_add_co_u32 v54, s14, v54, v114
	v_sub_nc_u32_e32 v81, v81, v98
	v_add_co_ci_u32_e64 v55, s14, v55, v115, s14
	v_add_co_u32 v64, s14, v64, v114
	s_delay_alu instid0(VALU_DEP_1) | instskip(NEXT) | instid1(VALU_DEP_4)
	v_add_co_ci_u32_e64 v65, s14, v65, v115, s14
	v_cmp_gt_i32_e64 s14, 8, v81
	v_sub_nc_u32_e32 v80, v80, v85
	s_delay_alu instid0(VALU_DEP_2) | instskip(SKIP_4) | instid1(VALU_DEP_1)
	s_or_b32 s5, s14, s5
	s_waitcnt vmcnt(1) lgkmcnt(1)
	v_max_f64 v[128:129], v[128:129], v[128:129]
	s_waitcnt vmcnt(0) lgkmcnt(0)
	v_max_f64 v[130:131], v[130:131], v[130:131]
	v_min_f64 v[132:133], v[130:131], v[128:129]
	v_max_f64 v[128:129], v[130:131], v[128:129]
	s_delay_alu instid0(VALU_DEP_1) | instskip(NEXT) | instid1(VALU_DEP_2)
	v_cndmask_b32_e64 v129, v133, v129, s13
	v_cndmask_b32_e64 v128, v132, v128, s13
	flat_store_b64 v[66:67], v[128:129] glc slc dlc
	v_add_co_u32 v66, s15, v66, v114
	s_delay_alu instid0(VALU_DEP_1)
	v_add_co_ci_u32_e64 v67, s15, v67, v115, s15
	s_and_not1_b32 exec_lo, exec_lo, s5
	s_cbranch_execnz .LBB2_418
; %bb.419:                              ;   in Loop: Header=BB2_310 Depth=3
	s_set_inst_prefetch_distance 0x2
	s_or_b32 exec_lo, exec_lo, s5
.LBB2_420:                              ;   in Loop: Header=BB2_310 Depth=3
	s_delay_alu instid0(SALU_CYCLE_1) | instskip(SKIP_2) | instid1(VALU_DEP_1)
	s_or_b32 exec_lo, exec_lo, s2
	v_and_b32_e32 v54, 7, v2
	s_mov_b32 s2, exec_lo
	v_cndmask_b32_e32 v2, v71, v54, vcc_lo
	s_delay_alu instid0(VALU_DEP_1)
	v_cmpx_ne_u32_e32 0, v2
	s_cbranch_execz .LBB2_425
; %bb.421:                              ;   in Loop: Header=BB2_310 Depth=3
	v_cmp_lt_i32_e64 s14, 0, v80
	s_delay_alu instid0(VALU_DEP_1) | instskip(NEXT) | instid1(VALU_DEP_1)
	v_cndmask_b32_e64 v55, 0, v85, s14
	v_sub_nc_u32_e32 v55, v55, v80
	s_delay_alu instid0(VALU_DEP_1) | instskip(NEXT) | instid1(VALU_DEP_1)
	v_lshl_add_u32 v55, v55, 5, v69
	v_ashrrev_i32_e32 v64, 31, v55
	s_delay_alu instid0(VALU_DEP_1) | instskip(NEXT) | instid1(VALU_DEP_1)
	v_lshrrev_b32_e32 v64, 27, v64
	v_add_nc_u32_e32 v64, v55, v64
	s_delay_alu instid0(VALU_DEP_1) | instskip(SKIP_1) | instid1(VALU_DEP_2)
	v_and_b32_e32 v65, 0x1fffffe0, v64
	v_lshlrev_b32_e32 v64, 3, v64
	v_sub_nc_u32_e32 v55, v55, v65
	s_delay_alu instid0(VALU_DEP_2) | instskip(NEXT) | instid1(VALU_DEP_1)
	v_and_b32_e32 v64, 0xffffff00, v64
	v_lshl_add_u32 v55, v55, 3, v64
	s_delay_alu instid0(VALU_DEP_1) | instskip(NEXT) | instid1(VALU_DEP_1)
	v_sub_nc_u32_e32 v2, v2, v55
	v_cmp_lt_i32_e64 s14, 7, v2
	s_delay_alu instid0(VALU_DEP_1)
	s_and_b32 exec_lo, exec_lo, s14
	s_cbranch_execz .LBB2_425
; %bb.422:                              ;   in Loop: Header=BB2_310 Depth=3
	s_cbranch_execnz .LBB2_1781
; %bb.423:                              ;   in Loop: Header=BB2_310 Depth=3
	ds_load_b128 v[64:67], v0
	v_sub_nc_u32_e32 v54, v71, v54
	v_add_nc_u32_e32 v11, v70, v11
	ds_load_b64 v[69:70], v0
	s_mov_b32 s5, 0
	v_cndmask_b32_e32 v54, 0, v54, vcc_lo
	s_delay_alu instid0(VALU_DEP_1) | instskip(NEXT) | instid1(VALU_DEP_1)
	v_add3_u32 v11, v11, v54, v55
	v_ashrrev_i32_e32 v71, 31, v11
	s_waitcnt lgkmcnt(1)
	v_add_co_u32 v54, vcc_lo, v64, v11
	s_delay_alu instid0(VALU_DEP_2)
	v_add_co_ci_u32_e32 v55, vcc_lo, v65, v71, vcc_lo
	v_add_co_u32 v64, vcc_lo, v66, v11
	v_add_co_ci_u32_e32 v65, vcc_lo, v67, v71, vcc_lo
	s_waitcnt lgkmcnt(0)
	v_add_co_u32 v66, vcc_lo, v69, v11
	v_add_co_ci_u32_e32 v67, vcc_lo, v70, v71, vcc_lo
	s_set_inst_prefetch_distance 0x1
.LBB2_424:                              ;   Parent Loop BB2_51 Depth=1
                                        ;     Parent Loop BB2_308 Depth=2
                                        ;       Parent Loop BB2_310 Depth=3
                                        ; =>      This Inner Loop Header: Depth=4
	flat_load_b64 v[69:70], v[64:65] slc dlc
	flat_load_b64 v[80:81], v[54:55] slc dlc
	v_add_co_u32 v54, vcc_lo, v54, v114
	v_sub_nc_u32_e32 v2, v2, v98
	v_add_co_ci_u32_e32 v55, vcc_lo, v55, v115, vcc_lo
	v_add_co_u32 v64, vcc_lo, v64, v114
	v_add_co_ci_u32_e32 v65, vcc_lo, v65, v115, vcc_lo
	s_delay_alu instid0(VALU_DEP_4)
	v_cmp_gt_i32_e32 vcc_lo, 8, v2
	s_or_b32 s5, vcc_lo, s5
	s_waitcnt vmcnt(1) lgkmcnt(1)
	v_max_f64 v[69:70], v[69:70], v[69:70]
	s_waitcnt vmcnt(0) lgkmcnt(0)
	v_max_f64 v[80:81], v[80:81], v[80:81]
	s_delay_alu instid0(VALU_DEP_1) | instskip(SKIP_1) | instid1(VALU_DEP_1)
	v_min_f64 v[128:129], v[80:81], v[69:70]
	v_max_f64 v[69:70], v[80:81], v[69:70]
	v_cndmask_b32_e64 v70, v129, v70, s13
	s_delay_alu instid0(VALU_DEP_2) | instskip(SKIP_2) | instid1(VALU_DEP_1)
	v_cndmask_b32_e64 v69, v128, v69, s13
	flat_store_b64 v[66:67], v[69:70] glc slc dlc
	v_add_co_u32 v66, s14, v66, v114
	v_add_co_ci_u32_e64 v67, s14, v67, v115, s14
	s_and_not1_b32 exec_lo, exec_lo, s5
	s_cbranch_execnz .LBB2_424
.LBB2_425:                              ;   in Loop: Header=BB2_310 Depth=3
	s_set_inst_prefetch_distance 0x2
	s_or_b32 exec_lo, exec_lo, s2
.LBB2_426:                              ;   in Loop: Header=BB2_310 Depth=3
	s_delay_alu instid0(SALU_CYCLE_1)
	s_or_b32 exec_lo, exec_lo, s36
.LBB2_427:                              ;   in Loop: Header=BB2_310 Depth=3
	s_and_saveexec_b32 s5, s3
	s_cbranch_execz .LBB2_449
; %bb.428:                              ;   in Loop: Header=BB2_310 Depth=3
	s_and_saveexec_b32 s2, s4
	s_delay_alu instid0(SALU_CYCLE_1)
	s_xor_b32 s2, exec_lo, s2
	s_cbranch_execz .LBB2_446
; %bb.429:                              ;   in Loop: Header=BB2_310 Depth=3
	s_and_saveexec_b32 s13, s1
	s_cbranch_execz .LBB2_445
; %bb.430:                              ;   in Loop: Header=BB2_310 Depth=3
	s_mov_b32 s15, exec_lo
	s_mov_b32 s14, exec_lo
	v_mbcnt_lo_u32_b32 v2, s15, 0
	s_waitcnt lgkmcnt(0)
	s_waitcnt_vscnt null, 0x0
	buffer_gl1_inv
	buffer_gl0_inv
	v_cmpx_eq_u32_e32 0, v2
	s_cbranch_execz .LBB2_432
; %bb.431:                              ;   in Loop: Header=BB2_310 Depth=3
	s_bcnt1_i32_b32 s15, s15
	s_delay_alu instid0(SALU_CYCLE_1)
	v_mov_b32_e32 v2, s15
	ds_add_u64 v0, v[2:3]
	s_cbranch_execnz .LBB2_1741
.LBB2_432:                              ;   in Loop: Header=BB2_310 Depth=3
	s_or_b32 exec_lo, exec_lo, s14
	s_cbranch_execnz .LBB2_1711
; %bb.433:                              ;   in Loop: Header=BB2_310 Depth=3
	ds_load_b64 v[54:55], v0
	v_add_co_u32 v12, vcc_lo, v12, v85
	v_add_co_ci_u32_e32 v13, vcc_lo, 0, v13, vcc_lo
	s_mov_b32 s14, exec_lo
	s_waitcnt lgkmcnt(0)
	s_delay_alu instid0(VALU_DEP_1)
	v_cmpx_lt_u64_e64 v[54:55], v[12:13]
	s_cbranch_execz .LBB2_444
; %bb.434:                              ;   in Loop: Header=BB2_310 Depth=3
	s_mov_b32 s15, 0
	s_mov_b32 s36, 0
                                        ; implicit-def: $sgpr20
                                        ; implicit-def: $sgpr28
	s_branch .LBB2_436
.LBB2_435:                              ;   in Loop: Header=BB2_436 Depth=4
	s_or_b32 exec_lo, exec_lo, s38
	s_delay_alu instid0(SALU_CYCLE_1) | instskip(NEXT) | instid1(SALU_CYCLE_1)
	s_and_b32 vcc_lo, exec_lo, vcc_lo
	s_or_b32 s15, vcc_lo, s15
	s_and_not1_b32 s20, s20, exec_lo
	s_and_b32 vcc_lo, s28, exec_lo
	s_delay_alu instid0(SALU_CYCLE_1)
	s_or_b32 s20, s20, vcc_lo
	s_and_not1_b32 exec_lo, exec_lo, s15
	s_cbranch_execz .LBB2_442
.LBB2_436:                              ;   Parent Loop BB2_51 Depth=1
                                        ;     Parent Loop BB2_308 Depth=2
                                        ;       Parent Loop BB2_310 Depth=3
                                        ; =>      This Inner Loop Header: Depth=4
	s_add_i32 s36, s36, 1
                                        ; implicit-def: $sgpr38
	s_delay_alu instid0(SALU_CYCLE_1) | instskip(SKIP_1) | instid1(SALU_CYCLE_1)
	s_cmpk_lg_i32 s36, 0x2710
	s_cselect_b32 s37, -1, 0
	s_and_b32 vcc_lo, exec_lo, s37
	s_cbranch_vccz .LBB2_440
.LBB2_437:                              ;   in Loop: Header=BB2_436 Depth=4
	s_and_not1_b32 s28, s28, exec_lo
	s_and_b32 s38, s38, exec_lo
	s_mov_b32 vcc_lo, -1
	s_or_b32 s28, s28, s38
	s_and_saveexec_b32 s38, s37
	s_cbranch_execz .LBB2_435
; %bb.438:                              ;   in Loop: Header=BB2_436 Depth=4
	s_sleep 1
	s_cbranch_execnz .LBB2_1793
; %bb.439:                              ;   in Loop: Header=BB2_436 Depth=4
	ds_load_b64 v[54:55], v0
	s_and_not1_b32 s28, s28, exec_lo
	s_waitcnt lgkmcnt(0)
	v_cmp_ge_u64_e32 vcc_lo, v[54:55], v[12:13]
	s_or_not1_b32 vcc_lo, vcc_lo, exec_lo
	s_branch .LBB2_435
.LBB2_440:                              ;   in Loop: Header=BB2_436 Depth=4
	s_cbranch_execnz .LBB2_1809
; %bb.441:                              ;   in Loop: Header=BB2_436 Depth=4
	ds_load_b64 v[54:55], v0
	s_and_not1_b32 s37, s37, exec_lo
	s_mov_b32 s36, 0
	s_mov_b32 s38, -1
	s_waitcnt lgkmcnt(0)
	flat_load_b32 v2, v[54:55] glc
	s_waitcnt vmcnt(0) lgkmcnt(0)
	buffer_gl1_inv
	buffer_gl0_inv
	v_cmp_eq_u32_e32 vcc_lo, 0, v2
	s_and_b32 vcc_lo, vcc_lo, exec_lo
	s_delay_alu instid0(SALU_CYCLE_1)
	s_or_b32 s37, s37, vcc_lo
	s_branch .LBB2_437
.LBB2_442:                              ;   in Loop: Header=BB2_310 Depth=3
	s_or_b32 exec_lo, exec_lo, s15
	s_and_saveexec_b32 s15, s20
	s_delay_alu instid0(SALU_CYCLE_1)
	s_xor_b32 s15, exec_lo, s15
	s_cbranch_execz .LBB2_444
; %bb.443:                              ;   in Loop: Header=BB2_310 Depth=3
	ds_store_b32 v0, v118
	s_cbranch_execnz .LBB2_1929
.LBB2_444:                              ;   in Loop: Header=BB2_310 Depth=3
	s_or_b32 exec_lo, exec_lo, s14
	;;#ASMSTART
	s_wakeup
	;;#ASMEND
.LBB2_445:                              ;   in Loop: Header=BB2_310 Depth=3
	s_or_b32 exec_lo, exec_lo, s13
.LBB2_446:                              ;   in Loop: Header=BB2_310 Depth=3
	s_and_not1_saveexec_b32 s2, s2
	s_cbranch_execz .LBB2_448
; %bb.447:                              ;   in Loop: Header=BB2_310 Depth=3
	s_waitcnt lgkmcnt(0)
	s_waitcnt_vscnt null, 0x0
	buffer_gl1_inv
	buffer_gl0_inv
	s_barrier
.LBB2_448:                              ;   in Loop: Header=BB2_310 Depth=3
	s_or_b32 exec_lo, exec_lo, s2
.LBB2_449:                              ;   in Loop: Header=BB2_310 Depth=3
	s_delay_alu instid0(SALU_CYCLE_1) | instskip(SKIP_1) | instid1(SALU_CYCLE_1)
	s_or_b32 exec_lo, exec_lo, s5
                                        ; implicit-def: $vgpr2
	s_and_saveexec_b32 s2, s7
	s_xor_b32 s2, exec_lo, s2
	s_cbranch_execz .LBB2_453
; %bb.450:                              ;   in Loop: Header=BB2_310 Depth=3
	v_and_b32_e32 v2, 16, v30
	v_cmp_lt_i32_e32 vcc_lo, 0, v9
	s_delay_alu instid0(VALU_DEP_2) | instskip(SKIP_1) | instid1(VALU_DEP_2)
	v_cmp_ne_u32_e64 s13, 0, v2
	v_and_b32_e32 v2, 16, v30
	s_and_b32 s13, s13, vcc_lo
	s_delay_alu instid0(SALU_CYCLE_1)
	s_and_saveexec_b32 s5, s13
	s_cbranch_execz .LBB2_452
; %bb.451:                              ;   in Loop: Header=BB2_310 Depth=3
	v_mov_b32_e32 v2, 1
	s_waitcnt lgkmcnt(0)
	s_waitcnt_vscnt null, 0x0
	buffer_gl1_inv
	buffer_gl0_inv
.LBB2_452:                              ;   in Loop: Header=BB2_310 Depth=3
	s_or_b32 exec_lo, exec_lo, s5
.LBB2_453:                              ;   in Loop: Header=BB2_310 Depth=3
	s_and_not1_saveexec_b32 s5, s2
	s_cbranch_execz .LBB2_475
; %bb.454:                              ;   in Loop: Header=BB2_310 Depth=3
	s_and_saveexec_b32 s2, s4
	s_delay_alu instid0(SALU_CYCLE_1)
	s_xor_b32 s2, exec_lo, s2
	s_cbranch_execz .LBB2_472
; %bb.455:                              ;   in Loop: Header=BB2_310 Depth=3
	s_and_saveexec_b32 s13, s1
	s_cbranch_execz .LBB2_471
; %bb.456:                              ;   in Loop: Header=BB2_310 Depth=3
	s_mov_b32 s15, exec_lo
	s_mov_b32 s14, exec_lo
	v_mbcnt_lo_u32_b32 v2, s15, 0
	;;#ASMSTART
	s_waitcnt lgkmcnt(0) vmcnt(0)
	;;#ASMEND
	s_delay_alu instid0(VALU_DEP_1)
	v_cmpx_eq_u32_e32 0, v2
	s_cbranch_execz .LBB2_458
; %bb.457:                              ;   in Loop: Header=BB2_310 Depth=3
	s_bcnt1_i32_b32 s15, s15
	s_delay_alu instid0(SALU_CYCLE_1)
	v_mov_b32_e32 v2, s15
	ds_add_u64 v0, v[2:3]
	s_cbranch_execnz .LBB2_1753
.LBB2_458:                              ;   in Loop: Header=BB2_310 Depth=3
	s_or_b32 exec_lo, exec_lo, s14
	s_cbranch_execnz .LBB2_1723
; %bb.459:                              ;   in Loop: Header=BB2_310 Depth=3
	ds_load_b64 v[54:55], v0
	v_add_co_u32 v12, vcc_lo, v12, v85
	v_add_co_ci_u32_e32 v13, vcc_lo, 0, v13, vcc_lo
	s_mov_b32 s14, exec_lo
	s_waitcnt lgkmcnt(0)
	s_delay_alu instid0(VALU_DEP_1)
	v_cmpx_lt_u64_e64 v[54:55], v[12:13]
	s_cbranch_execz .LBB2_470
; %bb.460:                              ;   in Loop: Header=BB2_310 Depth=3
	s_mov_b32 s15, 0
	s_mov_b32 s36, 0
                                        ; implicit-def: $sgpr20
                                        ; implicit-def: $sgpr28
	s_branch .LBB2_462
.LBB2_461:                              ;   in Loop: Header=BB2_462 Depth=4
	s_or_b32 exec_lo, exec_lo, s38
	s_delay_alu instid0(SALU_CYCLE_1) | instskip(NEXT) | instid1(SALU_CYCLE_1)
	s_and_b32 vcc_lo, exec_lo, vcc_lo
	s_or_b32 s15, vcc_lo, s15
	s_and_not1_b32 s20, s20, exec_lo
	s_and_b32 vcc_lo, s28, exec_lo
	s_delay_alu instid0(SALU_CYCLE_1)
	s_or_b32 s20, s20, vcc_lo
	s_and_not1_b32 exec_lo, exec_lo, s15
	s_cbranch_execz .LBB2_468
.LBB2_462:                              ;   Parent Loop BB2_51 Depth=1
                                        ;     Parent Loop BB2_308 Depth=2
                                        ;       Parent Loop BB2_310 Depth=3
                                        ; =>      This Inner Loop Header: Depth=4
	s_add_i32 s36, s36, 1
                                        ; implicit-def: $sgpr38
	s_delay_alu instid0(SALU_CYCLE_1) | instskip(SKIP_1) | instid1(SALU_CYCLE_1)
	s_cmpk_lg_i32 s36, 0x2710
	s_cselect_b32 s37, -1, 0
	s_and_b32 vcc_lo, exec_lo, s37
	s_cbranch_vccz .LBB2_466
.LBB2_463:                              ;   in Loop: Header=BB2_462 Depth=4
	s_and_not1_b32 s28, s28, exec_lo
	s_and_b32 s38, s38, exec_lo
	s_mov_b32 vcc_lo, -1
	s_or_b32 s28, s28, s38
	s_and_saveexec_b32 s38, s37
	s_cbranch_execz .LBB2_461
; %bb.464:                              ;   in Loop: Header=BB2_462 Depth=4
	s_sleep 1
	s_cbranch_execnz .LBB2_1805
; %bb.465:                              ;   in Loop: Header=BB2_462 Depth=4
	ds_load_b64 v[54:55], v0
	s_and_not1_b32 s28, s28, exec_lo
	s_waitcnt lgkmcnt(0)
	v_cmp_ge_u64_e32 vcc_lo, v[54:55], v[12:13]
	s_or_not1_b32 vcc_lo, vcc_lo, exec_lo
	s_branch .LBB2_461
.LBB2_466:                              ;   in Loop: Header=BB2_462 Depth=4
	s_cbranch_execnz .LBB2_1823
; %bb.467:                              ;   in Loop: Header=BB2_462 Depth=4
	ds_load_b64 v[54:55], v0
	s_and_not1_b32 s37, s37, exec_lo
	s_mov_b32 s36, 0
	s_mov_b32 s38, -1
	s_waitcnt lgkmcnt(0)
	s_waitcnt_vscnt null, 0x0
	flat_load_b32 v2, v[54:55] glc
	s_waitcnt vmcnt(0) lgkmcnt(0)
	buffer_gl1_inv
	buffer_gl0_inv
	v_cmp_eq_u32_e32 vcc_lo, 0, v2
	s_and_b32 vcc_lo, vcc_lo, exec_lo
	s_delay_alu instid0(SALU_CYCLE_1)
	s_or_b32 s37, s37, vcc_lo
	s_branch .LBB2_463
.LBB2_468:                              ;   in Loop: Header=BB2_310 Depth=3
	s_or_b32 exec_lo, exec_lo, s15
	s_and_saveexec_b32 s15, s20
	s_delay_alu instid0(SALU_CYCLE_1)
	s_xor_b32 s15, exec_lo, s15
	s_cbranch_execz .LBB2_470
; %bb.469:                              ;   in Loop: Header=BB2_310 Depth=3
	ds_store_b32 v0, v118
	s_cbranch_execnz .LBB2_1937
.LBB2_470:                              ;   in Loop: Header=BB2_310 Depth=3
	s_or_b32 exec_lo, exec_lo, s14
	;;#ASMSTART
	s_wakeup
	;;#ASMEND
.LBB2_471:                              ;   in Loop: Header=BB2_310 Depth=3
	s_or_b32 exec_lo, exec_lo, s13
.LBB2_472:                              ;   in Loop: Header=BB2_310 Depth=3
	s_and_not1_saveexec_b32 s2, s2
	s_cbranch_execz .LBB2_474
; %bb.473:                              ;   in Loop: Header=BB2_310 Depth=3
	;;#ASMSTART
	s_waitcnt lgkmcnt(0) vmcnt(0)
	;;#ASMEND
	s_waitcnt lgkmcnt(0)
	s_waitcnt_vscnt null, 0x0
	s_barrier
.LBB2_474:                              ;   in Loop: Header=BB2_310 Depth=3
	s_or_b32 exec_lo, exec_lo, s2
	v_and_b32_e32 v2, 16, v30
.LBB2_475:                              ;   in Loop: Header=BB2_310 Depth=3
	s_or_b32 exec_lo, exec_lo, s5
	s_delay_alu instid0(VALU_DEP_1) | instskip(SKIP_1) | instid1(SALU_CYCLE_1)
	v_cmp_ne_u32_e32 vcc_lo, 0, v2
	s_xor_b32 s2, s6, -1
	s_and_b32 s5, vcc_lo, s2
	s_delay_alu instid0(SALU_CYCLE_1)
	s_and_saveexec_b32 s2, s5
	s_cbranch_execz .LBB2_477
; %bb.476:                              ;   in Loop: Header=BB2_310 Depth=3
	s_waitcnt lgkmcnt(0)
	s_waitcnt_vscnt null, 0x0
	flat_store_b32 v[26:27], v118
.LBB2_477:                              ;   in Loop: Header=BB2_310 Depth=3
	s_or_b32 exec_lo, exec_lo, s2
	v_and_b32_e32 v2, 48, v30
	s_mov_b32 s2, exec_lo
	s_delay_alu instid0(VALU_DEP_1)
	v_cmpx_ne_u32_e32 0, v2
	s_cbranch_execz .LBB2_479
; %bb.478:                              ;   in Loop: Header=BB2_310 Depth=3
	v_add_co_u32 v22, vcc_lo, v22, 2
	v_add_co_ci_u32_e32 v23, vcc_lo, 0, v23, vcc_lo
	s_waitcnt lgkmcnt(0)
	s_waitcnt_vscnt null, 0x0
	flat_store_b64 v[20:21], v[22:23]
.LBB2_479:                              ;   in Loop: Header=BB2_310 Depth=3
	s_or_b32 exec_lo, exec_lo, s2
	v_add_nc_u32_e32 v10, v8, v10
	v_readlane_b32 s2, v42, 13
	s_mov_b32 s14, s10
	s_mov_b32 s36, s31
	;; [unrolled: 1-line block ×3, first 2 shown]
	v_cmp_ge_i32_e32 vcc_lo, v10, v68
	s_xor_b32 s2, s2, -1
	s_mov_b32 s15, 0
	s_mov_b32 s20, s12
	s_or_b32 s2, s2, vcc_lo
	s_delay_alu instid0(SALU_CYCLE_1) | instskip(SKIP_2) | instid1(VALU_DEP_1)
	s_and_b32 s5, exec_lo, s2
	v_readlane_b32 s2, v42, 12
	s_or_b32 s30, s5, s30
	v_mov_b32_e32 v2, s2
	v_readlane_b32 s2, v42, 14
	s_and_not1_b32 exec_lo, exec_lo, s30
	s_cbranch_execnz .LBB2_310
; %bb.480:                              ;   in Loop: Header=BB2_308 Depth=2
	s_or_b32 exec_lo, exec_lo, s30
	s_mov_b32 s31, s36
	s_mov_b32 s13, s20
.LBB2_481:                              ;   in Loop: Header=BB2_308 Depth=2
	s_or_b32 exec_lo, exec_lo, s17
	s_delay_alu instid0(SALU_CYCLE_1)
	s_mov_b32 s10, exec_lo
	v_cmpx_gt_i32_e32 2, v2
	s_cbranch_execz .LBB2_565
; %bb.482:                              ;   in Loop: Header=BB2_308 Depth=2
	v_cmp_eq_u32_e64 s5, 0, v2
	s_mov_b32 s12, 0
.LBB2_483:                              ;   Parent Loop BB2_51 Depth=1
                                        ;     Parent Loop BB2_308 Depth=2
                                        ; =>    This Loop Header: Depth=3
                                        ;         Child Loop BB2_489 Depth 4
                                        ;         Child Loop BB2_519 Depth 4
	;; [unrolled: 1-line block ×3, first 2 shown]
	v_and_b32_e32 v2, 12, v30
	s_mov_b32 s30, -1
	s_mov_b32 s15, exec_lo
	s_delay_alu instid0(VALU_DEP_1)
	v_cmpx_ne_u32_e32 0, v2
	s_cbranch_execz .LBB2_497
; %bb.484:                              ;   in Loop: Header=BB2_483 Depth=3
	v_dual_mov_b32 v9, 1 :: v_dual_and_b32 v2, 8, v30
	s_mov_b32 s17, s29
	s_mov_b32 s20, s34
	;; [unrolled: 1-line block ×3, first 2 shown]
	s_delay_alu instid0(VALU_DEP_1) | instskip(SKIP_4) | instid1(VALU_DEP_1)
	v_add_co_u32 v54, vcc_lo, v28, v2
	v_add_co_ci_u32_e32 v55, vcc_lo, 0, v29, vcc_lo
	v_add_co_u32 v52, vcc_lo, v22, 2
	v_add_co_ci_u32_e32 v53, vcc_lo, 0, v23, vcc_lo
	s_mov_b32 s29, exec_lo
	v_cmpx_lt_u64_e64 v[54:55], v[52:53]
	s_cbranch_execz .LBB2_496
; %bb.485:                              ;   in Loop: Header=BB2_483 Depth=3
	v_mov_b32_e32 v9, 0
	s_mov_b32 s30, 0
                                        ; implicit-def: $sgpr31
	s_branch .LBB2_489
.LBB2_486:                              ;   in Loop: Header=BB2_489 Depth=4
	s_or_b32 exec_lo, exec_lo, s38
	v_mov_b32_e32 v11, 0
	s_or_not1_b32 s37, s37, exec_lo
.LBB2_487:                              ;   in Loop: Header=BB2_489 Depth=4
	s_or_b32 exec_lo, exec_lo, s36
	s_delay_alu instid0(VALU_DEP_1) | instskip(SKIP_2) | instid1(SALU_CYCLE_1)
	v_mov_b32_e32 v9, v11
	s_and_not1_b32 vcc_lo, s31, exec_lo
	s_and_b32 s31, s37, exec_lo
	s_or_b32 s31, vcc_lo, s31
.LBB2_488:                              ;   in Loop: Header=BB2_489 Depth=4
	s_or_b32 exec_lo, exec_lo, s34
	s_waitcnt vmcnt(0) lgkmcnt(0)
	v_add_co_u32 v54, vcc_lo, v28, v2
	v_add_co_ci_u32_e32 v55, vcc_lo, 0, v29, vcc_lo
	s_xor_b32 s34, s31, -1
	s_delay_alu instid0(VALU_DEP_1) | instskip(SKIP_1) | instid1(SALU_CYCLE_1)
	v_cmp_ge_u64_e32 vcc_lo, v[54:55], v[52:53]
	s_or_b32 vcc_lo, s34, vcc_lo
	s_and_b32 vcc_lo, exec_lo, vcc_lo
	s_delay_alu instid0(SALU_CYCLE_1) | instskip(NEXT) | instid1(SALU_CYCLE_1)
	s_or_b32 s30, vcc_lo, s30
	s_and_not1_b32 exec_lo, exec_lo, s30
	s_cbranch_execz .LBB2_495
.LBB2_489:                              ;   Parent Loop BB2_51 Depth=1
                                        ;     Parent Loop BB2_308 Depth=2
                                        ;       Parent Loop BB2_483 Depth=3
                                        ; =>      This Inner Loop Header: Depth=4
	s_sleep 1
	flat_load_b64 v[28:29], v[20:21] glc
	v_and_b32_e32 v11, 64, v30
	s_and_not1_b32 s31, s31, exec_lo
	s_mov_b32 s34, exec_lo
	s_delay_alu instid0(VALU_DEP_1)
	v_cmpx_eq_u32_e32 0, v11
	s_cbranch_execz .LBB2_488
; %bb.490:                              ;   in Loop: Header=BB2_489 Depth=4
	v_add_nc_u32_e32 v11, 1, v9
	s_mov_b32 s37, -1
	s_mov_b32 s36, exec_lo
	v_cmpx_lt_i32_e32 0x270e, v9
	s_cbranch_execz .LBB2_487
; %bb.491:                              ;   in Loop: Header=BB2_489 Depth=4
	s_cbranch_execnz .LBB2_1527
; %bb.492:                              ;   in Loop: Header=BB2_489 Depth=4
	ds_load_b64 v[54:55], v0
	s_mov_b32 s38, exec_lo
	s_waitcnt vmcnt(0) lgkmcnt(0)
	s_waitcnt_vscnt null, 0x0
	flat_load_b32 v9, v[54:55] glc
	s_waitcnt vmcnt(0) lgkmcnt(0)
	buffer_gl1_inv
	buffer_gl0_inv
	v_cmpx_ne_u32_e32 0, v9
	s_cbranch_execz .LBB2_486
; %bb.493:                              ;   in Loop: Header=BB2_489 Depth=4
	ds_store_b32 v0, v9
	s_cbranch_execnz .LBB2_1575
; %bb.494:                              ;   in Loop: Header=BB2_489 Depth=4
	v_or_b32_e32 v30, 64, v30
	s_xor_b32 s37, exec_lo, -1
	s_branch .LBB2_486
.LBB2_495:                              ;   in Loop: Header=BB2_483 Depth=3
	s_or_b32 exec_lo, exec_lo, s30
	v_and_b32_e32 v9, 12, v30
.LBB2_496:                              ;   in Loop: Header=BB2_483 Depth=3
	s_or_b32 exec_lo, exec_lo, s29
	s_delay_alu instid0(VALU_DEP_1)
	v_cmp_eq_u32_e32 vcc_lo, 0, v9
	s_mov_b32 s31, s28
	s_mov_b32 s34, s20
	;; [unrolled: 1-line block ×3, first 2 shown]
	;;#ASMSTART
	s_wakeup
	;;#ASMEND
	s_or_not1_b32 s30, vcc_lo, exec_lo
.LBB2_497:                              ;   in Loop: Header=BB2_483 Depth=3
	s_or_b32 exec_lo, exec_lo, s15
	v_sub_nc_u32_e32 v2, v68, v10
	s_xor_b32 s5, s5, -1
	s_delay_alu instid0(SALU_CYCLE_1) | instskip(NEXT) | instid1(SALU_CYCLE_1)
	s_and_b32 s5, exec_lo, s5
	s_or_b32 s12, s5, s12
	s_delay_alu instid0(VALU_DEP_1) | instskip(SKIP_1) | instid1(SALU_CYCLE_1)
	v_min_i32_e32 v8, v8, v2
	s_xor_b32 s15, s30, -1
	s_and_saveexec_b32 s5, s15
	s_cbranch_execz .LBB2_510
; %bb.498:                              ;   in Loop: Header=BB2_483 Depth=3
	v_and_b32_e32 v2, 0x108, v30
	s_mov_b32 s17, s7
	s_mov_b32 s7, s3
	;; [unrolled: 1-line block ×4, first 2 shown]
	v_cmp_ne_u32_e32 vcc_lo, 0x108, v2
	v_and_b32_e32 v2, 7, v22
	s_mov_b32 s15, s2
	s_mov_b32 s2, s13
	;; [unrolled: 1-line block ×3, first 2 shown]
	s_and_saveexec_b32 s13, vcc_lo
	s_delay_alu instid0(SALU_CYCLE_1) | instskip(NEXT) | instid1(SALU_CYCLE_1)
	s_xor_b32 s13, exec_lo, s13
	s_and_not1_saveexec_b32 s13, s13
	s_cbranch_execz .LBB2_500
; %bb.499:                              ;   in Loop: Header=BB2_483 Depth=3
	v_ashrrev_i32_e32 v9, 31, v8
	v_mad_u64_u32 v[52:53], null, v2, 24, v[6:7]
	s_delay_alu instid0(VALU_DEP_2)
	v_lshlrev_b64 v[54:55], 3, v[8:9]
	flat_store_b64 v[52:53], v[54:55] offset:8
.LBB2_500:                              ;   in Loop: Header=BB2_483 Depth=3
	s_or_b32 exec_lo, exec_lo, s13
	v_and_b32_e32 v9, 0x100, v30
	s_mov_b32 s13, -1
	s_mov_b32 s29, exec_lo
                                        ; implicit-def: $vgpr52_vgpr53
	s_delay_alu instid0(VALU_DEP_1)
	v_cmpx_ne_u32_e32 0, v9
	s_cbranch_execnz .LBB2_503
; %bb.501:                              ;   in Loop: Header=BB2_483 Depth=3
	s_or_b32 exec_lo, exec_lo, s29
	s_and_saveexec_b32 s29, s13
	s_cbranch_execnz .LBB2_506
.LBB2_502:                              ;   in Loop: Header=BB2_483 Depth=3
	s_or_b32 exec_lo, exec_lo, s29
	s_cbranch_execnz .LBB2_1519
	s_branch .LBB2_507
.LBB2_503:                              ;   in Loop: Header=BB2_483 Depth=3
	v_mad_u64_u32 v[54:55], null, v2, 24, v[6:7]
	s_mov_b32 s30, exec_lo
	s_delay_alu instid0(VALU_DEP_1) | instskip(NEXT) | instid1(VALU_DEP_1)
	v_mov_b32_e32 v9, v55
	v_mad_u64_u32 v[52:53], null, v3, 24, v[9:10]
	s_delay_alu instid0(VALU_DEP_1)
	v_mov_b32_e32 v55, v52
                                        ; implicit-def: $vgpr52_vgpr53
	flat_load_b32 v9, v[54:55]
	s_waitcnt vmcnt(0) lgkmcnt(0)
	v_cmp_ne_u32_e32 vcc_lo, 1, v9
	v_cmpx_eq_u32_e32 1, v9
	s_cbranch_execz .LBB2_505
; %bb.504:                              ;   in Loop: Header=BB2_483 Depth=3
	flat_load_b32 v52, v[54:55] offset:4 glc
	s_waitcnt vmcnt(0) lgkmcnt(0)
	v_ashrrev_i32_e32 v53, 31, v52
	s_delay_alu instid0(VALU_DEP_1)
	v_lshrrev_b64 v[52:53], 3, v[52:53]
.LBB2_505:                              ;   in Loop: Header=BB2_483 Depth=3
	s_or_b32 exec_lo, exec_lo, s30
	s_delay_alu instid0(SALU_CYCLE_1)
	s_or_not1_b32 s13, vcc_lo, exec_lo
	s_or_b32 exec_lo, exec_lo, s29
	s_and_saveexec_b32 s29, s13
	s_cbranch_execz .LBB2_502
.LBB2_506:                              ;   in Loop: Header=BB2_483 Depth=3
	v_mul_lo_u32 v9, v3, v83
	v_mul_lo_u32 v11, v2, v84
	v_mad_u64_u32 v[52:53], null, v2, v83, 0
	s_delay_alu instid0(VALU_DEP_1)
	v_add3_u32 v53, v53, v11, v9
	s_or_b32 exec_lo, exec_lo, s29
	s_cbranch_execnz .LBB2_1519
.LBB2_507:                              ;   in Loop: Header=BB2_483 Depth=3
	s_delay_alu instid0(VALU_DEP_1) | instskip(SKIP_2) | instid1(VALU_DEP_2)
	v_lshlrev_b64 v[52:53], 3, v[52:53]
	v_and_b32_e32 v2, 0x2000, v30
	s_mov_b32 s13, exec_lo
	v_add_co_u32 v52, vcc_lo, v24, v52
	s_delay_alu instid0(VALU_DEP_3)
	v_add_co_ci_u32_e32 v53, vcc_lo, v25, v53, vcc_lo
	ds_store_b64 v0, v[52:53]
	v_cmpx_ne_u32_e32 0, v2
	s_cbranch_execz .LBB2_509
; %bb.508:                              ;   in Loop: Header=BB2_483 Depth=3
	ds_load_b64 v[52:53], v0 offset:584
	s_waitcnt lgkmcnt(0)
	v_add_co_u32 v52, vcc_lo, v52, 1
	v_add_co_ci_u32_e32 v53, vcc_lo, 0, v53, vcc_lo
	ds_store_b64 v0, v[52:53] offset:584
.LBB2_509:                              ;   in Loop: Header=BB2_483 Depth=3
	s_or_b32 exec_lo, exec_lo, s13
	v_add_co_u32 v22, vcc_lo, v22, 2
	v_add_co_ci_u32_e32 v23, vcc_lo, 0, v23, vcc_lo
	s_mov_b32 s31, s4
	s_mov_b32 s13, s2
	;; [unrolled: 1-line block ×7, first 2 shown]
.LBB2_510:                              ;   in Loop: Header=BB2_483 Depth=3
	s_or_b32 exec_lo, exec_lo, s5
	s_mov_b32 s17, s13
	s_mov_b32 s15, s34
	;; [unrolled: 1-line block ×4, first 2 shown]
	s_and_saveexec_b32 s5, s3
	s_cbranch_execz .LBB2_532
; %bb.511:                              ;   in Loop: Header=BB2_483 Depth=3
	s_and_saveexec_b32 s3, s4
	s_delay_alu instid0(SALU_CYCLE_1)
	s_xor_b32 s3, exec_lo, s3
	s_cbranch_execz .LBB2_529
; %bb.512:                              ;   in Loop: Header=BB2_483 Depth=3
	s_and_saveexec_b32 s13, s1
	s_cbranch_execz .LBB2_528
; %bb.513:                              ;   in Loop: Header=BB2_483 Depth=3
	s_mov_b32 s28, exec_lo
	s_mov_b32 s20, exec_lo
	v_mbcnt_lo_u32_b32 v2, s28, 0
	s_waitcnt lgkmcnt(0)
	s_waitcnt_vscnt null, 0x0
	buffer_gl1_inv
	buffer_gl0_inv
	v_cmpx_eq_u32_e32 0, v2
	s_cbranch_execz .LBB2_515
; %bb.514:                              ;   in Loop: Header=BB2_483 Depth=3
	s_bcnt1_i32_b32 s28, s28
	s_delay_alu instid0(SALU_CYCLE_1)
	v_mov_b32_e32 v2, s28
	ds_add_u64 v0, v[2:3]
	s_cbranch_execnz .LBB2_1631
.LBB2_515:                              ;   in Loop: Header=BB2_483 Depth=3
	s_or_b32 exec_lo, exec_lo, s20
	s_cbranch_execnz .LBB2_1597
; %bb.516:                              ;   in Loop: Header=BB2_483 Depth=3
	ds_load_b64 v[52:53], v0
	v_add_co_u32 v12, vcc_lo, v12, v85
	v_add_co_ci_u32_e32 v13, vcc_lo, 0, v13, vcc_lo
	s_mov_b32 s20, exec_lo
	s_waitcnt lgkmcnt(0)
	s_delay_alu instid0(VALU_DEP_1)
	v_cmpx_lt_u64_e64 v[52:53], v[12:13]
	s_cbranch_execz .LBB2_527
; %bb.517:                              ;   in Loop: Header=BB2_483 Depth=3
	s_mov_b32 s28, 0
	s_mov_b32 s37, 0
                                        ; implicit-def: $sgpr31
                                        ; implicit-def: $sgpr34
	s_branch .LBB2_519
.LBB2_518:                              ;   in Loop: Header=BB2_519 Depth=4
	s_or_b32 exec_lo, exec_lo, s39
	s_delay_alu instid0(SALU_CYCLE_1) | instskip(NEXT) | instid1(SALU_CYCLE_1)
	s_and_b32 vcc_lo, exec_lo, vcc_lo
	s_or_b32 s28, vcc_lo, s28
	s_and_not1_b32 vcc_lo, s31, exec_lo
	s_and_b32 s31, s34, exec_lo
	s_delay_alu instid0(SALU_CYCLE_1)
	s_or_b32 s31, vcc_lo, s31
	s_and_not1_b32 exec_lo, exec_lo, s28
	s_cbranch_execz .LBB2_525
.LBB2_519:                              ;   Parent Loop BB2_51 Depth=1
                                        ;     Parent Loop BB2_308 Depth=2
                                        ;       Parent Loop BB2_483 Depth=3
                                        ; =>      This Inner Loop Header: Depth=4
	s_add_i32 s37, s37, 1
                                        ; implicit-def: $sgpr39
	s_delay_alu instid0(SALU_CYCLE_1) | instskip(SKIP_1) | instid1(SALU_CYCLE_1)
	s_cmpk_lg_i32 s37, 0x2710
	s_cselect_b32 s38, -1, 0
	s_and_b32 vcc_lo, exec_lo, s38
	s_cbranch_vccz .LBB2_523
.LBB2_520:                              ;   in Loop: Header=BB2_519 Depth=4
	s_and_not1_b32 s34, s34, exec_lo
	s_and_b32 s39, s39, exec_lo
	s_mov_b32 vcc_lo, -1
	s_or_b32 s34, s34, s39
	s_and_saveexec_b32 s39, s38
	s_cbranch_execz .LBB2_518
; %bb.521:                              ;   in Loop: Header=BB2_519 Depth=4
	s_sleep 1
	s_cbranch_execnz .LBB2_1679
; %bb.522:                              ;   in Loop: Header=BB2_519 Depth=4
	ds_load_b64 v[52:53], v0
	s_and_not1_b32 s34, s34, exec_lo
	s_waitcnt lgkmcnt(0)
	v_cmp_ge_u64_e32 vcc_lo, v[52:53], v[12:13]
	s_or_not1_b32 vcc_lo, vcc_lo, exec_lo
	s_branch .LBB2_518
.LBB2_523:                              ;   in Loop: Header=BB2_519 Depth=4
	s_cbranch_execnz .LBB2_1687
; %bb.524:                              ;   in Loop: Header=BB2_519 Depth=4
	ds_load_b64 v[52:53], v0
	s_and_not1_b32 s38, s38, exec_lo
	s_mov_b32 s37, 0
	s_mov_b32 s39, -1
	s_waitcnt lgkmcnt(0)
	flat_load_b32 v2, v[52:53] glc
	s_waitcnt vmcnt(0) lgkmcnt(0)
	buffer_gl1_inv
	buffer_gl0_inv
	v_cmp_eq_u32_e32 vcc_lo, 0, v2
	s_and_b32 vcc_lo, vcc_lo, exec_lo
	s_delay_alu instid0(SALU_CYCLE_1)
	s_or_b32 s38, s38, vcc_lo
	s_branch .LBB2_520
.LBB2_525:                              ;   in Loop: Header=BB2_483 Depth=3
	s_or_b32 exec_lo, exec_lo, s28
	s_and_saveexec_b32 s28, s31
	s_delay_alu instid0(SALU_CYCLE_1)
	s_xor_b32 s28, exec_lo, s28
	s_cbranch_execz .LBB2_527
; %bb.526:                              ;   in Loop: Header=BB2_483 Depth=3
	ds_store_b32 v0, v118
	s_cbranch_execnz .LBB2_1889
.LBB2_527:                              ;   in Loop: Header=BB2_483 Depth=3
	s_or_b32 exec_lo, exec_lo, s20
	;;#ASMSTART
	s_wakeup
	;;#ASMEND
.LBB2_528:                              ;   in Loop: Header=BB2_483 Depth=3
	s_or_b32 exec_lo, exec_lo, s13
.LBB2_529:                              ;   in Loop: Header=BB2_483 Depth=3
	s_and_not1_saveexec_b32 s3, s3
	s_cbranch_execz .LBB2_531
; %bb.530:                              ;   in Loop: Header=BB2_483 Depth=3
	s_waitcnt lgkmcnt(0)
	s_waitcnt_vscnt null, 0x0
	buffer_gl1_inv
	buffer_gl0_inv
	s_barrier
.LBB2_531:                              ;   in Loop: Header=BB2_483 Depth=3
	s_or_b32 exec_lo, exec_lo, s3
.LBB2_532:                              ;   in Loop: Header=BB2_483 Depth=3
	s_delay_alu instid0(SALU_CYCLE_1) | instskip(NEXT) | instid1(SALU_CYCLE_1)
	s_or_b32 exec_lo, exec_lo, s5
                                        ; implicit-def: $vgpr2
	s_mov_b32 s5, exec_lo
	v_readlane_b32 s3, v42, 4
	s_delay_alu instid0(VALU_DEP_1) | instskip(NEXT) | instid1(SALU_CYCLE_1)
	s_and_b32 s3, s5, s3
	s_xor_b32 s5, s3, s5
	s_mov_b32 exec_lo, s3
	s_cbranch_execz .LBB2_554
; %bb.533:                              ;   in Loop: Header=BB2_483 Depth=3
	s_and_saveexec_b32 s3, s4
	s_delay_alu instid0(SALU_CYCLE_1)
	s_xor_b32 s3, exec_lo, s3
	s_cbranch_execz .LBB2_551
; %bb.534:                              ;   in Loop: Header=BB2_483 Depth=3
	s_and_saveexec_b32 s13, s1
	s_cbranch_execz .LBB2_550
; %bb.535:                              ;   in Loop: Header=BB2_483 Depth=3
	s_mov_b32 s28, exec_lo
	s_mov_b32 s20, exec_lo
	v_mbcnt_lo_u32_b32 v2, s28, 0
	;;#ASMSTART
	s_waitcnt lgkmcnt(0) vmcnt(0)
	;;#ASMEND
	s_delay_alu instid0(VALU_DEP_1)
	v_cmpx_eq_u32_e32 0, v2
	s_cbranch_execz .LBB2_537
; %bb.536:                              ;   in Loop: Header=BB2_483 Depth=3
	s_bcnt1_i32_b32 s28, s28
	s_delay_alu instid0(SALU_CYCLE_1)
	v_mov_b32_e32 v2, s28
	ds_add_u64 v0, v[2:3]
	s_cbranch_execnz .LBB2_1641
.LBB2_537:                              ;   in Loop: Header=BB2_483 Depth=3
	s_or_b32 exec_lo, exec_lo, s20
	s_cbranch_execnz .LBB2_1607
; %bb.538:                              ;   in Loop: Header=BB2_483 Depth=3
	ds_load_b64 v[52:53], v0
	v_add_co_u32 v12, vcc_lo, v12, v85
	v_add_co_ci_u32_e32 v13, vcc_lo, 0, v13, vcc_lo
	s_mov_b32 s20, exec_lo
	s_waitcnt lgkmcnt(0)
	s_delay_alu instid0(VALU_DEP_1)
	v_cmpx_lt_u64_e64 v[52:53], v[12:13]
	s_cbranch_execz .LBB2_549
; %bb.539:                              ;   in Loop: Header=BB2_483 Depth=3
	s_mov_b32 s28, 0
	s_mov_b32 s37, 0
                                        ; implicit-def: $sgpr31
                                        ; implicit-def: $sgpr34
	s_branch .LBB2_541
.LBB2_540:                              ;   in Loop: Header=BB2_541 Depth=4
	s_or_b32 exec_lo, exec_lo, s39
	s_delay_alu instid0(SALU_CYCLE_1) | instskip(NEXT) | instid1(SALU_CYCLE_1)
	s_and_b32 vcc_lo, exec_lo, vcc_lo
	s_or_b32 s28, vcc_lo, s28
	s_and_not1_b32 vcc_lo, s31, exec_lo
	s_and_b32 s31, s34, exec_lo
	s_delay_alu instid0(SALU_CYCLE_1)
	s_or_b32 s31, vcc_lo, s31
	s_and_not1_b32 exec_lo, exec_lo, s28
	s_cbranch_execz .LBB2_547
.LBB2_541:                              ;   Parent Loop BB2_51 Depth=1
                                        ;     Parent Loop BB2_308 Depth=2
                                        ;       Parent Loop BB2_483 Depth=3
                                        ; =>      This Inner Loop Header: Depth=4
	s_add_i32 s37, s37, 1
                                        ; implicit-def: $sgpr39
	s_delay_alu instid0(SALU_CYCLE_1) | instskip(SKIP_1) | instid1(SALU_CYCLE_1)
	s_cmpk_lg_i32 s37, 0x2710
	s_cselect_b32 s38, -1, 0
	s_and_b32 vcc_lo, exec_lo, s38
	s_cbranch_vccz .LBB2_545
.LBB2_542:                              ;   in Loop: Header=BB2_541 Depth=4
	s_and_not1_b32 s34, s34, exec_lo
	s_and_b32 s39, s39, exec_lo
	s_mov_b32 vcc_lo, -1
	s_or_b32 s34, s34, s39
	s_and_saveexec_b32 s39, s38
	s_cbranch_execz .LBB2_540
; %bb.543:                              ;   in Loop: Header=BB2_541 Depth=4
	s_sleep 1
	s_cbranch_execnz .LBB2_1681
; %bb.544:                              ;   in Loop: Header=BB2_541 Depth=4
	ds_load_b64 v[52:53], v0
	s_and_not1_b32 s34, s34, exec_lo
	s_waitcnt lgkmcnt(0)
	v_cmp_ge_u64_e32 vcc_lo, v[52:53], v[12:13]
	s_or_not1_b32 vcc_lo, vcc_lo, exec_lo
	s_branch .LBB2_540
.LBB2_545:                              ;   in Loop: Header=BB2_541 Depth=4
	s_cbranch_execnz .LBB2_1697
; %bb.546:                              ;   in Loop: Header=BB2_541 Depth=4
	ds_load_b64 v[52:53], v0
	s_and_not1_b32 s38, s38, exec_lo
	s_mov_b32 s37, 0
	s_mov_b32 s39, -1
	s_waitcnt lgkmcnt(0)
	s_waitcnt_vscnt null, 0x0
	flat_load_b32 v2, v[52:53] glc
	s_waitcnt vmcnt(0) lgkmcnt(0)
	buffer_gl1_inv
	buffer_gl0_inv
	v_cmp_eq_u32_e32 vcc_lo, 0, v2
	s_and_b32 vcc_lo, vcc_lo, exec_lo
	s_delay_alu instid0(SALU_CYCLE_1)
	s_or_b32 s38, s38, vcc_lo
	s_branch .LBB2_542
.LBB2_547:                              ;   in Loop: Header=BB2_483 Depth=3
	s_or_b32 exec_lo, exec_lo, s28
	s_and_saveexec_b32 s28, s31
	s_delay_alu instid0(SALU_CYCLE_1)
	s_xor_b32 s28, exec_lo, s28
	s_cbranch_execz .LBB2_549
; %bb.548:                              ;   in Loop: Header=BB2_483 Depth=3
	ds_store_b32 v0, v118
	s_cbranch_execnz .LBB2_1893
.LBB2_549:                              ;   in Loop: Header=BB2_483 Depth=3
	s_or_b32 exec_lo, exec_lo, s20
	;;#ASMSTART
	s_wakeup
	;;#ASMEND
.LBB2_550:                              ;   in Loop: Header=BB2_483 Depth=3
	s_or_b32 exec_lo, exec_lo, s13
.LBB2_551:                              ;   in Loop: Header=BB2_483 Depth=3
	s_and_not1_saveexec_b32 s3, s3
	s_cbranch_execz .LBB2_553
; %bb.552:                              ;   in Loop: Header=BB2_483 Depth=3
	;;#ASMSTART
	s_waitcnt lgkmcnt(0) vmcnt(0)
	;;#ASMEND
	s_waitcnt lgkmcnt(0)
	s_waitcnt_vscnt null, 0x0
	s_barrier
.LBB2_553:                              ;   in Loop: Header=BB2_483 Depth=3
	s_or_b32 exec_lo, exec_lo, s3
	v_and_b32_e32 v2, 16, v30
.LBB2_554:                              ;   in Loop: Header=BB2_483 Depth=3
	s_and_not1_saveexec_b32 s3, s5
	s_cbranch_execz .LBB2_559
; %bb.555:                              ;   in Loop: Header=BB2_483 Depth=3
	s_cbranch_execnz .LBB2_1541
; %bb.556:                              ;   in Loop: Header=BB2_483 Depth=3
	ds_load_b32 v2, v0
	v_cmp_lt_i32_e32 vcc_lo, 0, v8
	s_waitcnt lgkmcnt(0)
	v_readfirstlane_b32 s5, v2
	v_and_b32_e32 v2, 16, v30
	s_delay_alu instid0(VALU_DEP_2) | instskip(NEXT) | instid1(VALU_DEP_1)
	s_cmp_eq_u32 s5, 0
	v_cmp_ne_u32_e64 s13, 0, v2
	s_cselect_b32 s5, -1, 0
	v_and_b32_e32 v2, 16, v30
	s_and_b32 s5, vcc_lo, s5
	s_delay_alu instid0(VALU_DEP_2) | instid1(SALU_CYCLE_1)
	s_and_b32 s13, s13, s5
	s_delay_alu instid0(SALU_CYCLE_1)
	s_and_saveexec_b32 s5, s13
	s_cbranch_execz .LBB2_558
; %bb.557:                              ;   in Loop: Header=BB2_483 Depth=3
	v_mov_b32_e32 v2, 1
	s_waitcnt_vscnt null, 0x0
	buffer_gl1_inv
	buffer_gl0_inv
.LBB2_558:                              ;   in Loop: Header=BB2_483 Depth=3
	s_or_b32 exec_lo, exec_lo, s5
.LBB2_559:                              ;   in Loop: Header=BB2_483 Depth=3
	s_delay_alu instid0(SALU_CYCLE_1) | instskip(NEXT) | instid1(VALU_DEP_1)
	s_or_b32 exec_lo, exec_lo, s3
	v_cmp_ne_u32_e32 vcc_lo, 0, v2
	s_xor_b32 s3, s6, -1
	s_delay_alu instid0(SALU_CYCLE_1) | instskip(NEXT) | instid1(SALU_CYCLE_1)
	s_and_b32 s5, vcc_lo, s3
	s_and_saveexec_b32 s3, s5
	s_cbranch_execz .LBB2_561
; %bb.560:                              ;   in Loop: Header=BB2_483 Depth=3
	s_waitcnt lgkmcnt(0)
	s_waitcnt_vscnt null, 0x0
	flat_store_b32 v[26:27], v118
.LBB2_561:                              ;   in Loop: Header=BB2_483 Depth=3
	s_or_b32 exec_lo, exec_lo, s3
	v_and_b32_e32 v2, 48, v30
	s_mov_b32 s3, exec_lo
	s_delay_alu instid0(VALU_DEP_1)
	v_cmpx_ne_u32_e32 0, v2
	s_cbranch_execz .LBB2_563
; %bb.562:                              ;   in Loop: Header=BB2_483 Depth=3
	v_add_co_u32 v22, vcc_lo, v22, 2
	v_add_co_ci_u32_e32 v23, vcc_lo, 0, v23, vcc_lo
	s_waitcnt lgkmcnt(0)
	s_waitcnt_vscnt null, 0x0
	flat_store_b64 v[20:21], v[22:23]
.LBB2_563:                              ;   in Loop: Header=BB2_483 Depth=3
	s_or_b32 exec_lo, exec_lo, s3
	v_add_nc_u32_e32 v10, v8, v10
	s_mov_b32 s5, 0
	s_mov_b32 s31, s30
	;; [unrolled: 1-line block ×5, first 2 shown]
	s_and_not1_b32 exec_lo, exec_lo, s12
	s_cbranch_execnz .LBB2_483
; %bb.564:                              ;   in Loop: Header=BB2_308 Depth=2
	s_or_b32 exec_lo, exec_lo, s12
.LBB2_565:                              ;   in Loop: Header=BB2_308 Depth=2
	s_delay_alu instid0(SALU_CYCLE_1) | instskip(SKIP_1) | instid1(SALU_CYCLE_1)
	s_or_b32 exec_lo, exec_lo, s10
	s_add_i32 s16, s16, 1
	s_cmp_eq_u32 s16, s19
	s_cbranch_scc0 .LBB2_308
.LBB2_566:                              ;   in Loop: Header=BB2_51 Depth=1
	v_mul_lo_u32 v2, v39, s19
	v_mul_lo_u32 v10, v38, s21
	v_mad_u64_u32 v[8:9], null, v38, s19, 0
	v_mov_b32_e32 v54, 0
	s_mov_b32 s16, 0
	s_delay_alu instid0(VALU_DEP_2) | instskip(NEXT) | instid1(VALU_DEP_3)
	v_add3_u32 v9, v9, v10, v2
	v_sub_co_u32 v10, vcc_lo, v48, v8
	s_delay_alu instid0(VALU_DEP_2) | instskip(NEXT) | instid1(VALU_DEP_1)
	v_sub_co_ci_u32_e32 v11, vcc_lo, v49, v9, vcc_lo
	v_cmp_lt_i64_e32 vcc_lo, v[38:39], v[10:11]
	v_cndmask_b32_e32 v10, v10, v38, vcc_lo
	s_delay_alu instid0(VALU_DEP_1) | instskip(SKIP_1) | instid1(VALU_DEP_2)
	v_max_i32_e32 v119, 0, v10
	v_cmp_lt_i32_e32 vcc_lo, 0, v10
	v_add_nc_u32_e32 v2, 31, v119
	s_and_b32 s10, s34, vcc_lo
	s_delay_alu instid0(VALU_DEP_1) | instskip(NEXT) | instid1(VALU_DEP_1)
	v_lshrrev_b32_e32 v2, 1, v2
	v_dual_mov_b32 v2, 0 :: v_dual_and_b32 v11, 0x3ffffff0, v2
	s_delay_alu instid0(VALU_DEP_1)
	v_max_i32_e32 v52, s25, v11
	s_and_saveexec_b32 s5, s10
	s_cbranch_execz .LBB2_784
; %bb.567:                              ;   in Loop: Header=BB2_51 Depth=1
	v_add_co_u32 v8, vcc_lo, v8, v50
	v_add_co_ci_u32_e32 v9, vcc_lo, v9, v51, vcc_lo
	v_mov_b32_e32 v54, 0
	s_mov_b32 s30, 1
	s_mov_b32 s36, -1
	s_delay_alu instid0(VALU_DEP_2)
	v_lshlrev_b64 v[64:65], 3, v[8:9]
	v_writelane_b32 v42, s5, 5
.LBB2_568:                              ;   Parent Loop BB2_51 Depth=1
                                        ; =>  This Loop Header: Depth=2
                                        ;       Child Loop BB2_577 Depth 3
                                        ;       Child Loop BB2_607 Depth 3
                                        ;       Child Loop BB2_630 Depth 3
                                        ;       Child Loop BB2_658 Depth 3
                                        ;         Child Loop BB2_659 Depth 4
                                        ;       Child Loop BB2_666 Depth 3
                                        ;         Child Loop BB2_667 Depth 4
                                        ;       Child Loop BB2_679 Depth 3
	;; [unrolled: 2-line block ×4, first 2 shown]
                                        ;       Child Loop BB2_710 Depth 3
                                        ;       Child Loop BB2_721 Depth 3
	;; [unrolled: 1-line block ×5, first 2 shown]
	s_and_saveexec_b32 s5, s0
	s_cbranch_execz .LBB2_571
; %bb.569:                              ;   in Loop: Header=BB2_568 Depth=2
	s_cbranch_execnz .LBB2_1509
; %bb.570:                              ;   in Loop: Header=BB2_568 Depth=2
	ds_load_2addr_b64 v[8:11], v0 offset1:1
	ds_load_b64 v[66:67], v0
	v_ashrrev_i32_e32 v55, 31, v54
	s_mov_b32 s10, s13
	s_delay_alu instid0(VALU_DEP_1)
	v_lshlrev_b64 v[68:69], 3, v[54:55]
	s_waitcnt lgkmcnt(1)
	v_add_co_u32 v2, vcc_lo, v8, v64
	v_add_co_ci_u32_e32 v9, vcc_lo, v9, v65, vcc_lo
	v_add_co_u32 v10, vcc_lo, v10, v64
	v_add_co_ci_u32_e32 v11, vcc_lo, v11, v65, vcc_lo
	s_waitcnt lgkmcnt(0)
	v_add_co_u32 v53, vcc_lo, v66, v64
	v_add_co_ci_u32_e32 v55, vcc_lo, v67, v65, vcc_lo
	v_add_co_u32 v8, vcc_lo, v2, v68
	v_add_co_ci_u32_e32 v9, vcc_lo, v9, v69, vcc_lo
	s_delay_alu instid0(VALU_DEP_4) | instskip(NEXT) | instid1(VALU_DEP_4)
	v_add_co_u32 v2, vcc_lo, v53, v68
	v_add_co_ci_u32_e32 v53, vcc_lo, v55, v69, vcc_lo
	v_cmp_ne_u64_e32 vcc_lo, 0, v[66:67]
	v_add_co_u32 v10, s13, v10, v68
	s_delay_alu instid0(VALU_DEP_1)
	v_add_co_ci_u32_e64 v11, s13, v11, v69, s13
	s_mov_b32 s13, s10
	v_dual_cndmask_b32 v67, 0, v53 :: v_dual_cndmask_b32 v66, 0, v2
	ds_store_b64 v0, v[8:9]
	ds_store_b64 v0, v[10:11]
	;; [unrolled: 1-line block ×3, first 2 shown]
.LBB2_571:                              ;   in Loop: Header=BB2_568 Depth=2
	s_or_b32 exec_lo, exec_lo, s5
	v_and_b32_e32 v2, 12, v30
	s_mov_b32 s28, -1
	s_mov_b32 s5, exec_lo
	s_delay_alu instid0(VALU_DEP_1)
	v_cmpx_ne_u32_e32 0, v2
	s_cbranch_execz .LBB2_585
; %bb.572:                              ;   in Loop: Header=BB2_568 Depth=2
	v_and_b32_e32 v2, 8, v30
	s_mov_b32 s10, s29
	s_mov_b32 s12, s30
	;; [unrolled: 1-line block ×4, first 2 shown]
	v_add_co_u32 v10, vcc_lo, v28, v2
	v_add_co_ci_u32_e32 v11, vcc_lo, 0, v29, vcc_lo
	v_add_co_u32 v8, vcc_lo, v22, 2
	v_add_co_ci_u32_e32 v9, vcc_lo, 0, v23, vcc_lo
	s_mov_b32 s20, s31
	s_delay_alu instid0(VALU_DEP_1)
	v_cmp_lt_u64_e32 vcc_lo, v[10:11], v[8:9]
	v_mov_b32_e32 v10, 1
	s_and_saveexec_b32 s28, vcc_lo
	s_cbranch_execz .LBB2_584
; %bb.573:                              ;   in Loop: Header=BB2_568 Depth=2
	v_mov_b32_e32 v10, 0
	s_mov_b32 s29, 0
                                        ; implicit-def: $sgpr30
	s_branch .LBB2_577
.LBB2_574:                              ;   in Loop: Header=BB2_577 Depth=3
	s_or_b32 exec_lo, exec_lo, s37
	v_mov_b32_e32 v11, 0
	s_or_not1_b32 s36, s36, exec_lo
.LBB2_575:                              ;   in Loop: Header=BB2_577 Depth=3
	s_or_b32 exec_lo, exec_lo, s34
	s_delay_alu instid0(VALU_DEP_1) | instskip(SKIP_2) | instid1(SALU_CYCLE_1)
	v_mov_b32_e32 v10, v11
	s_and_not1_b32 vcc_lo, s30, exec_lo
	s_and_b32 s30, s36, exec_lo
	s_or_b32 s30, vcc_lo, s30
.LBB2_576:                              ;   in Loop: Header=BB2_577 Depth=3
	s_or_b32 exec_lo, exec_lo, s31
	s_waitcnt vmcnt(0) lgkmcnt(0)
	v_add_co_u32 v66, vcc_lo, v28, v2
	v_add_co_ci_u32_e32 v67, vcc_lo, 0, v29, vcc_lo
	s_xor_b32 s31, s30, -1
	s_delay_alu instid0(VALU_DEP_1) | instskip(SKIP_1) | instid1(SALU_CYCLE_1)
	v_cmp_ge_u64_e32 vcc_lo, v[66:67], v[8:9]
	s_or_b32 vcc_lo, s31, vcc_lo
	s_and_b32 vcc_lo, exec_lo, vcc_lo
	s_delay_alu instid0(SALU_CYCLE_1) | instskip(NEXT) | instid1(SALU_CYCLE_1)
	s_or_b32 s29, vcc_lo, s29
	s_and_not1_b32 exec_lo, exec_lo, s29
	s_cbranch_execz .LBB2_583
.LBB2_577:                              ;   Parent Loop BB2_51 Depth=1
                                        ;     Parent Loop BB2_568 Depth=2
                                        ; =>    This Inner Loop Header: Depth=3
	s_sleep 1
	flat_load_b64 v[28:29], v[20:21] glc
	v_and_b32_e32 v11, 64, v30
	s_and_not1_b32 s30, s30, exec_lo
	s_mov_b32 s31, exec_lo
	s_delay_alu instid0(VALU_DEP_1)
	v_cmpx_eq_u32_e32 0, v11
	s_cbranch_execz .LBB2_576
; %bb.578:                              ;   in Loop: Header=BB2_577 Depth=3
	v_add_nc_u32_e32 v11, 1, v10
	s_mov_b32 s36, -1
	s_mov_b32 s34, exec_lo
	v_cmpx_lt_i32_e32 0x270e, v10
	s_cbranch_execz .LBB2_575
; %bb.579:                              ;   in Loop: Header=BB2_577 Depth=3
	s_cbranch_execnz .LBB2_1535
; %bb.580:                              ;   in Loop: Header=BB2_577 Depth=3
	ds_load_b64 v[10:11], v0
	s_mov_b32 s37, exec_lo
	s_waitcnt vmcnt(0) lgkmcnt(0)
	s_waitcnt_vscnt null, 0x0
	flat_load_b32 v10, v[10:11] glc
	s_waitcnt vmcnt(0) lgkmcnt(0)
	buffer_gl1_inv
	buffer_gl0_inv
	v_cmpx_ne_u32_e32 0, v10
	s_cbranch_execz .LBB2_574
; %bb.581:                              ;   in Loop: Header=BB2_577 Depth=3
	ds_store_b32 v0, v10
	s_cbranch_execnz .LBB2_1589
; %bb.582:                              ;   in Loop: Header=BB2_577 Depth=3
	v_or_b32_e32 v30, 64, v30
	s_xor_b32 s36, exec_lo, -1
	s_branch .LBB2_574
.LBB2_583:                              ;   in Loop: Header=BB2_568 Depth=2
	s_or_b32 exec_lo, exec_lo, s29
	v_and_b32_e32 v10, 12, v30
.LBB2_584:                              ;   in Loop: Header=BB2_568 Depth=2
	s_or_b32 exec_lo, exec_lo, s28
	s_delay_alu instid0(VALU_DEP_1)
	v_cmp_eq_u32_e32 vcc_lo, 0, v10
	s_mov_b32 s31, s20
	s_mov_b32 s34, s17
	;; [unrolled: 1-line block ×4, first 2 shown]
	s_or_not1_b32 s28, vcc_lo, exec_lo
	s_mov_b32 s29, s10
	;;#ASMSTART
	s_wakeup
	;;#ASMEND
.LBB2_585:                              ;   in Loop: Header=BB2_568 Depth=2
	s_or_b32 exec_lo, exec_lo, s5
	v_sub_nc_u32_e32 v2, v119, v54
	s_xor_b32 s10, s28, -1
	s_delay_alu instid0(VALU_DEP_1)
	v_min_i32_e32 v52, v52, v2
	s_and_saveexec_b32 s5, s10
	s_cbranch_execz .LBB2_598
; %bb.586:                              ;   in Loop: Header=BB2_568 Depth=2
	v_and_b32_e32 v2, 0x108, v30
	s_mov_b32 s28, s21
	s_mov_b32 s21, s7
	;; [unrolled: 1-line block ×4, first 2 shown]
	v_cmp_ne_u32_e32 vcc_lo, 0x108, v2
	v_and_b32_e32 v2, 7, v22
	s_mov_b32 s20, s29
	s_mov_b32 s10, s2
	;; [unrolled: 1-line block ×6, first 2 shown]
	s_and_saveexec_b32 s13, vcc_lo
	s_delay_alu instid0(SALU_CYCLE_1) | instskip(NEXT) | instid1(SALU_CYCLE_1)
	s_xor_b32 s13, exec_lo, s13
	s_and_not1_saveexec_b32 s13, s13
	s_cbranch_execz .LBB2_588
; %bb.587:                              ;   in Loop: Header=BB2_568 Depth=2
	v_ashrrev_i32_e32 v53, 31, v52
	v_mad_u64_u32 v[8:9], null, v2, 24, v[6:7]
	s_delay_alu instid0(VALU_DEP_2)
	v_lshlrev_b64 v[10:11], 3, v[52:53]
	flat_store_b64 v[8:9], v[10:11] offset:8
.LBB2_588:                              ;   in Loop: Header=BB2_568 Depth=2
	s_or_b32 exec_lo, exec_lo, s13
	v_and_b32_e32 v8, 0x100, v30
	s_mov_b32 s13, -1
	s_delay_alu instid0(VALU_DEP_1)
	v_cmp_ne_u32_e32 vcc_lo, 0, v8
                                        ; implicit-def: $vgpr8_vgpr9
	s_and_saveexec_b32 s29, vcc_lo
	s_cbranch_execnz .LBB2_591
; %bb.589:                              ;   in Loop: Header=BB2_568 Depth=2
	s_or_b32 exec_lo, exec_lo, s29
	s_and_saveexec_b32 s29, s13
	s_cbranch_execnz .LBB2_594
.LBB2_590:                              ;   in Loop: Header=BB2_568 Depth=2
	s_or_b32 exec_lo, exec_lo, s29
	s_cbranch_execnz .LBB2_1529
	s_branch .LBB2_595
.LBB2_591:                              ;   in Loop: Header=BB2_568 Depth=2
	v_mad_u64_u32 v[10:11], null, v2, 24, v[6:7]
	s_delay_alu instid0(VALU_DEP_1) | instskip(NEXT) | instid1(VALU_DEP_1)
	v_mov_b32_e32 v8, v11
	v_mad_u64_u32 v[66:67], null, v3, 24, v[8:9]
	s_delay_alu instid0(VALU_DEP_1) | instskip(SKIP_4) | instid1(VALU_DEP_1)
	v_mov_b32_e32 v11, v66
	flat_load_b32 v8, v[10:11]
	s_waitcnt vmcnt(0) lgkmcnt(0)
	v_cmp_ne_u32_e32 vcc_lo, 1, v8
	v_cmp_eq_u32_e64 s13, 1, v8
                                        ; implicit-def: $vgpr8_vgpr9
	s_and_saveexec_b32 s30, s13
	s_cbranch_execz .LBB2_593
; %bb.592:                              ;   in Loop: Header=BB2_568 Depth=2
	flat_load_b32 v8, v[10:11] offset:4 glc
	s_waitcnt vmcnt(0) lgkmcnt(0)
	v_ashrrev_i32_e32 v9, 31, v8
	s_delay_alu instid0(VALU_DEP_1)
	v_lshrrev_b64 v[8:9], 3, v[8:9]
.LBB2_593:                              ;   in Loop: Header=BB2_568 Depth=2
	s_or_b32 exec_lo, exec_lo, s30
	s_delay_alu instid0(SALU_CYCLE_1)
	s_or_not1_b32 s13, vcc_lo, exec_lo
	s_or_b32 exec_lo, exec_lo, s29
	s_and_saveexec_b32 s29, s13
	s_cbranch_execz .LBB2_590
.LBB2_594:                              ;   in Loop: Header=BB2_568 Depth=2
	v_mul_lo_u32 v10, v3, v83
	v_mul_lo_u32 v11, v2, v84
	v_mad_u64_u32 v[8:9], null, v2, v83, 0
	s_delay_alu instid0(VALU_DEP_1)
	v_add3_u32 v9, v9, v11, v10
	s_or_b32 exec_lo, exec_lo, s29
	s_cbranch_execnz .LBB2_1529
.LBB2_595:                              ;   in Loop: Header=BB2_568 Depth=2
	s_delay_alu instid0(VALU_DEP_1) | instskip(SKIP_2) | instid1(VALU_DEP_2)
	v_lshlrev_b64 v[8:9], 3, v[8:9]
	v_and_b32_e32 v2, 0x2000, v30
	s_mov_b32 s13, exec_lo
	v_add_co_u32 v8, vcc_lo, v24, v8
	s_delay_alu instid0(VALU_DEP_3)
	v_add_co_ci_u32_e32 v9, vcc_lo, v25, v9, vcc_lo
	ds_store_b64 v0, v[8:9]
	v_cmpx_ne_u32_e32 0, v2
	s_cbranch_execz .LBB2_597
; %bb.596:                              ;   in Loop: Header=BB2_568 Depth=2
	ds_load_b64 v[8:9], v0 offset:584
	s_waitcnt lgkmcnt(0)
	v_add_co_u32 v8, vcc_lo, v8, 1
	v_add_co_ci_u32_e32 v9, vcc_lo, 0, v9, vcc_lo
	ds_store_b64 v0, v[8:9] offset:584
.LBB2_597:                              ;   in Loop: Header=BB2_568 Depth=2
	s_or_b32 exec_lo, exec_lo, s13
	v_add_co_u32 v22, vcc_lo, v22, 2
	v_add_co_ci_u32_e32 v23, vcc_lo, 0, v23, vcc_lo
	s_mov_b32 s31, s4
	s_mov_b32 s13, s3
	;; [unrolled: 1-line block ×10, first 2 shown]
.LBB2_598:                              ;   in Loop: Header=BB2_568 Depth=2
	v_writelane_b32 v42, s16, 6
	v_writelane_b32 v42, s14, 7
	;; [unrolled: 1-line block ×6, first 2 shown]
	s_or_b32 exec_lo, exec_lo, s5
	s_and_saveexec_b32 s5, s3
	s_mov_b32 s31, s36
	s_cbranch_execz .LBB2_620
; %bb.599:                              ;   in Loop: Header=BB2_568 Depth=2
	s_and_saveexec_b32 s10, s4
	s_delay_alu instid0(SALU_CYCLE_1)
	s_xor_b32 s10, exec_lo, s10
	s_cbranch_execz .LBB2_617
; %bb.600:                              ;   in Loop: Header=BB2_568 Depth=2
	s_and_saveexec_b32 s12, s1
	s_cbranch_execz .LBB2_616
; %bb.601:                              ;   in Loop: Header=BB2_568 Depth=2
	s_mov_b32 s14, exec_lo
	s_mov_b32 s13, exec_lo
	v_mbcnt_lo_u32_b32 v2, s14, 0
	s_waitcnt lgkmcnt(0)
	s_waitcnt_vscnt null, 0x0
	buffer_gl1_inv
	buffer_gl0_inv
	v_cmpx_eq_u32_e32 0, v2
	s_cbranch_execz .LBB2_603
; %bb.602:                              ;   in Loop: Header=BB2_568 Depth=2
	s_bcnt1_i32_b32 s14, s14
	s_delay_alu instid0(SALU_CYCLE_1)
	v_mov_b32_e32 v2, s14
	ds_add_u64 v0, v[2:3]
	s_cbranch_execnz .LBB2_1645
.LBB2_603:                              ;   in Loop: Header=BB2_568 Depth=2
	s_or_b32 exec_lo, exec_lo, s13
	s_cbranch_execnz .LBB2_1619
; %bb.604:                              ;   in Loop: Header=BB2_568 Depth=2
	ds_load_b64 v[8:9], v0
	v_add_co_u32 v12, vcc_lo, v12, v85
	v_add_co_ci_u32_e32 v13, vcc_lo, 0, v13, vcc_lo
	s_mov_b32 s13, exec_lo
	s_waitcnt lgkmcnt(0)
	s_delay_alu instid0(VALU_DEP_1)
	v_cmpx_lt_u64_e64 v[8:9], v[12:13]
	s_cbranch_execz .LBB2_615
; %bb.605:                              ;   in Loop: Header=BB2_568 Depth=2
	s_mov_b32 s14, 0
	s_mov_b32 s17, 0
                                        ; implicit-def: $sgpr15
                                        ; implicit-def: $sgpr16
	s_branch .LBB2_607
.LBB2_606:                              ;   in Loop: Header=BB2_607 Depth=3
	s_or_b32 exec_lo, exec_lo, s34
	s_delay_alu instid0(SALU_CYCLE_1) | instskip(NEXT) | instid1(SALU_CYCLE_1)
	s_and_b32 s20, exec_lo, s28
	s_or_b32 s14, s20, s14
	s_and_not1_b32 s15, s15, exec_lo
	s_and_b32 s20, s16, exec_lo
	s_delay_alu instid0(SALU_CYCLE_1)
	s_or_b32 s15, s15, s20
	s_and_not1_b32 exec_lo, exec_lo, s14
	s_cbranch_execz .LBB2_613
.LBB2_607:                              ;   Parent Loop BB2_51 Depth=1
                                        ;     Parent Loop BB2_568 Depth=2
                                        ; =>    This Inner Loop Header: Depth=3
	s_add_i32 s17, s17, 1
                                        ; implicit-def: $sgpr28
	s_delay_alu instid0(SALU_CYCLE_1) | instskip(SKIP_1) | instid1(SALU_CYCLE_1)
	s_cmpk_lg_i32 s17, 0x2710
	s_cselect_b32 s20, -1, 0
	s_and_b32 vcc_lo, exec_lo, s20
	s_cbranch_vccz .LBB2_611
.LBB2_608:                              ;   in Loop: Header=BB2_607 Depth=3
	s_and_not1_b32 s16, s16, exec_lo
	s_and_b32 vcc_lo, s28, exec_lo
	s_mov_b32 s28, -1
	s_or_b32 s16, s16, vcc_lo
	s_and_saveexec_b32 s34, s20
	s_cbranch_execz .LBB2_606
; %bb.609:                              ;   in Loop: Header=BB2_607 Depth=3
	s_sleep 1
	s_cbranch_execnz .LBB2_1689
; %bb.610:                              ;   in Loop: Header=BB2_607 Depth=3
	ds_load_b64 v[8:9], v0
	s_and_not1_b32 s16, s16, exec_lo
	s_waitcnt lgkmcnt(0)
	v_cmp_ge_u64_e32 vcc_lo, v[8:9], v[12:13]
	s_or_not1_b32 s28, vcc_lo, exec_lo
	s_branch .LBB2_606
.LBB2_611:                              ;   in Loop: Header=BB2_607 Depth=3
	s_cbranch_execnz .LBB2_1701
; %bb.612:                              ;   in Loop: Header=BB2_607 Depth=3
	ds_load_b64 v[8:9], v0
	s_and_not1_b32 s20, s20, exec_lo
	s_mov_b32 s17, 0
	s_mov_b32 s28, -1
	s_waitcnt lgkmcnt(0)
	flat_load_b32 v2, v[8:9] glc
	s_waitcnt vmcnt(0) lgkmcnt(0)
	buffer_gl1_inv
	buffer_gl0_inv
	v_cmp_eq_u32_e32 vcc_lo, 0, v2
	s_and_b32 vcc_lo, vcc_lo, exec_lo
	s_delay_alu instid0(SALU_CYCLE_1)
	s_or_b32 s20, s20, vcc_lo
	s_branch .LBB2_608
.LBB2_613:                              ;   in Loop: Header=BB2_568 Depth=2
	s_or_b32 exec_lo, exec_lo, s14
	s_and_saveexec_b32 s14, s15
	s_delay_alu instid0(SALU_CYCLE_1)
	s_xor_b32 s14, exec_lo, s14
	s_cbranch_execz .LBB2_615
; %bb.614:                              ;   in Loop: Header=BB2_568 Depth=2
	ds_store_b32 v0, v118
	s_cbranch_execnz .LBB2_1899
.LBB2_615:                              ;   in Loop: Header=BB2_568 Depth=2
	s_or_b32 exec_lo, exec_lo, s13
	;;#ASMSTART
	s_wakeup
	;;#ASMEND
.LBB2_616:                              ;   in Loop: Header=BB2_568 Depth=2
	s_or_b32 exec_lo, exec_lo, s12
.LBB2_617:                              ;   in Loop: Header=BB2_568 Depth=2
	s_and_not1_saveexec_b32 s10, s10
	s_cbranch_execz .LBB2_619
; %bb.618:                              ;   in Loop: Header=BB2_568 Depth=2
	s_waitcnt lgkmcnt(0)
	s_waitcnt_vscnt null, 0x0
	buffer_gl1_inv
	buffer_gl0_inv
	s_barrier
.LBB2_619:                              ;   in Loop: Header=BB2_568 Depth=2
	s_or_b32 exec_lo, exec_lo, s10
.LBB2_620:                              ;   in Loop: Header=BB2_568 Depth=2
	s_delay_alu instid0(SALU_CYCLE_1)
	s_or_b32 exec_lo, exec_lo, s5
	s_cbranch_execnz .LBB2_1515
; %bb.621:                              ;   in Loop: Header=BB2_568 Depth=2
	ds_load_b32 v8, v0
	v_and_b32_e32 v2, 0x4000, v30
	s_xor_b32 s5, s2, -1
	s_delay_alu instid0(VALU_DEP_1) | instskip(SKIP_1) | instid1(SALU_CYCLE_1)
	v_cmp_ne_u32_e32 vcc_lo, 0, v2
	s_and_b32 s10, s5, vcc_lo
	s_and_saveexec_b32 s5, s10
	s_cbranch_execz .LBB2_643
; %bb.622:                              ;   in Loop: Header=BB2_568 Depth=2
	s_and_saveexec_b32 s10, s4
	s_delay_alu instid0(SALU_CYCLE_1)
	s_xor_b32 s10, exec_lo, s10
	s_cbranch_execz .LBB2_640
; %bb.623:                              ;   in Loop: Header=BB2_568 Depth=2
	s_and_saveexec_b32 s12, s1
	s_cbranch_execz .LBB2_639
; %bb.624:                              ;   in Loop: Header=BB2_568 Depth=2
	s_mov_b32 s14, exec_lo
	s_mov_b32 s13, exec_lo
	v_mbcnt_lo_u32_b32 v2, s14, 0
	s_waitcnt lgkmcnt(0)
	s_waitcnt_vscnt null, 0x0
	buffer_gl1_inv
	buffer_gl0_inv
	v_cmpx_eq_u32_e32 0, v2
	s_cbranch_execz .LBB2_626
; %bb.625:                              ;   in Loop: Header=BB2_568 Depth=2
	s_bcnt1_i32_b32 s14, s14
	s_delay_alu instid0(SALU_CYCLE_1)
	v_mov_b32_e32 v2, s14
	ds_add_u64 v0, v[2:3]
	s_cbranch_execnz .LBB2_1683
.LBB2_626:                              ;   in Loop: Header=BB2_568 Depth=2
	s_or_b32 exec_lo, exec_lo, s13
	s_cbranch_execnz .LBB2_1655
; %bb.627:                              ;   in Loop: Header=BB2_568 Depth=2
	ds_load_b64 v[9:10], v0
	v_add_co_u32 v12, vcc_lo, v12, v85
	v_add_co_ci_u32_e32 v13, vcc_lo, 0, v13, vcc_lo
	s_mov_b32 s13, exec_lo
	s_waitcnt lgkmcnt(0)
	s_delay_alu instid0(VALU_DEP_1)
	v_cmpx_lt_u64_e64 v[9:10], v[12:13]
	s_cbranch_execz .LBB2_638
; %bb.628:                              ;   in Loop: Header=BB2_568 Depth=2
	s_mov_b32 s14, 0
	s_mov_b32 s17, 0
                                        ; implicit-def: $sgpr15
                                        ; implicit-def: $sgpr16
	s_branch .LBB2_630
.LBB2_629:                              ;   in Loop: Header=BB2_630 Depth=3
	s_or_b32 exec_lo, exec_lo, s34
	s_delay_alu instid0(SALU_CYCLE_1) | instskip(NEXT) | instid1(SALU_CYCLE_1)
	s_and_b32 s20, exec_lo, s28
	s_or_b32 s14, s20, s14
	s_and_not1_b32 s15, s15, exec_lo
	s_and_b32 s20, s16, exec_lo
	s_delay_alu instid0(SALU_CYCLE_1)
	s_or_b32 s15, s15, s20
	s_and_not1_b32 exec_lo, exec_lo, s14
	s_cbranch_execz .LBB2_636
.LBB2_630:                              ;   Parent Loop BB2_51 Depth=1
                                        ;     Parent Loop BB2_568 Depth=2
                                        ; =>    This Inner Loop Header: Depth=3
	s_add_i32 s17, s17, 1
                                        ; implicit-def: $sgpr28
	s_delay_alu instid0(SALU_CYCLE_1) | instskip(SKIP_1) | instid1(SALU_CYCLE_1)
	s_cmpk_lg_i32 s17, 0x2710
	s_cselect_b32 s20, -1, 0
	s_and_b32 vcc_lo, exec_lo, s20
	s_cbranch_vccz .LBB2_634
.LBB2_631:                              ;   in Loop: Header=BB2_630 Depth=3
	s_and_not1_b32 s16, s16, exec_lo
	s_and_b32 vcc_lo, s28, exec_lo
	s_mov_b32 s28, -1
	s_or_b32 s16, s16, vcc_lo
	s_and_saveexec_b32 s34, s20
	s_cbranch_execz .LBB2_629
; %bb.632:                              ;   in Loop: Header=BB2_630 Depth=3
	s_sleep 1
	s_cbranch_execnz .LBB2_1743
; %bb.633:                              ;   in Loop: Header=BB2_630 Depth=3
	ds_load_b64 v[9:10], v0
	s_and_not1_b32 s16, s16, exec_lo
	s_waitcnt lgkmcnt(0)
	v_cmp_ge_u64_e32 vcc_lo, v[9:10], v[12:13]
	s_or_not1_b32 s28, vcc_lo, exec_lo
	s_branch .LBB2_629
.LBB2_634:                              ;   in Loop: Header=BB2_630 Depth=3
	s_cbranch_execnz .LBB2_1757
; %bb.635:                              ;   in Loop: Header=BB2_630 Depth=3
	ds_load_b64 v[9:10], v0
	s_and_not1_b32 s20, s20, exec_lo
	s_mov_b32 s17, 0
	s_mov_b32 s28, -1
	s_waitcnt lgkmcnt(0)
	flat_load_b32 v2, v[9:10] glc
	s_waitcnt vmcnt(0) lgkmcnt(0)
	buffer_gl1_inv
	buffer_gl0_inv
	v_cmp_eq_u32_e32 vcc_lo, 0, v2
	s_and_b32 vcc_lo, vcc_lo, exec_lo
	s_delay_alu instid0(SALU_CYCLE_1)
	s_or_b32 s20, s20, vcc_lo
	s_branch .LBB2_631
.LBB2_636:                              ;   in Loop: Header=BB2_568 Depth=2
	s_or_b32 exec_lo, exec_lo, s14
	s_and_saveexec_b32 s14, s15
	s_delay_alu instid0(SALU_CYCLE_1)
	s_xor_b32 s14, exec_lo, s14
	s_cbranch_execz .LBB2_638
; %bb.637:                              ;   in Loop: Header=BB2_568 Depth=2
	ds_store_b32 v0, v118
	s_cbranch_execnz .LBB2_1923
.LBB2_638:                              ;   in Loop: Header=BB2_568 Depth=2
	s_or_b32 exec_lo, exec_lo, s13
	;;#ASMSTART
	s_wakeup
	;;#ASMEND
.LBB2_639:                              ;   in Loop: Header=BB2_568 Depth=2
	s_or_b32 exec_lo, exec_lo, s12
.LBB2_640:                              ;   in Loop: Header=BB2_568 Depth=2
	s_and_not1_saveexec_b32 s10, s10
	s_cbranch_execz .LBB2_642
; %bb.641:                              ;   in Loop: Header=BB2_568 Depth=2
	s_waitcnt lgkmcnt(0)
	s_waitcnt_vscnt null, 0x0
	buffer_gl1_inv
	buffer_gl0_inv
	s_barrier
.LBB2_642:                              ;   in Loop: Header=BB2_568 Depth=2
	s_or_b32 exec_lo, exec_lo, s10
.LBB2_643:                              ;   in Loop: Header=BB2_568 Depth=2
	s_delay_alu instid0(SALU_CYCLE_1)
	s_or_b32 exec_lo, exec_lo, s5
	s_cbranch_execnz .LBB2_1549
; %bb.644:                              ;   in Loop: Header=BB2_568 Depth=2
	ds_load_b64 v[9:10], v0
	v_mov_b32_e32 v53, 0
	s_waitcnt lgkmcnt(0)
	v_cmp_eq_u64_e32 vcc_lo, 0, v[9:10]
	s_or_b32 s5, vcc_lo, vcc_lo
	s_delay_alu instid0(SALU_CYCLE_1)
	s_and_b32 vcc_lo, exec_lo, s5
	s_cbranch_vccnz .LBB2_730
; %bb.645:                              ;   in Loop: Header=BB2_568 Depth=2
	v_cmp_eq_u32_e32 vcc_lo, 0, v8
	s_cbranch_execnz .LBB2_1611
; %bb.646:                              ;   in Loop: Header=BB2_568 Depth=2
	ds_load_b64 v[8:9], v0
	v_cndmask_b32_e32 v53, 0, v52, vcc_lo
	s_mov_b32 s5, -1
	s_delay_alu instid0(VALU_DEP_1)
	v_lshlrev_b32_e32 v2, 3, v53
	s_waitcnt lgkmcnt(0)
	v_cmp_ne_u64_e32 vcc_lo, 0, v[8:9]
	v_readfirstlane_b32 s10, v8
	s_cbranch_vccz .LBB2_692
; %bb.647:                              ;   in Loop: Header=BB2_568 Depth=2
	s_mov_b32 s12, exec_lo
	v_readlane_b32 s13, v42, 2
	s_delay_alu instid0(VALU_DEP_1) | instskip(NEXT) | instid1(SALU_CYCLE_1)
	s_and_b32 s13, s12, s13
	s_mov_b32 exec_lo, s13
	s_cbranch_execz .LBB2_649
; %bb.648:                              ;   in Loop: Header=BB2_568 Depth=2
	ds_load_b32 v8, v0 offset:720
	s_waitcnt lgkmcnt(0)
	v_and_b32_e32 v8, 15, v8
	s_delay_alu instid0(VALU_DEP_1)
	v_cmp_eq_u32_e32 vcc_lo, 0, v8
	s_or_not1_b32 s5, vcc_lo, exec_lo
.LBB2_649:                              ;   in Loop: Header=BB2_568 Depth=2
	s_or_b32 exec_lo, exec_lo, s12
	s_delay_alu instid0(SALU_CYCLE_1) | instskip(SKIP_1) | instid1(VALU_DEP_1)
	s_mov_b32 s12, exec_lo
	v_readlane_b32 s13, v42, 2
	s_and_b32 s13, s12, s13
	s_delay_alu instid0(SALU_CYCLE_1)
	s_mov_b32 exec_lo, s13
	s_cbranch_execz .LBB2_651
; %bb.650:                              ;   in Loop: Header=BB2_568 Depth=2
	ds_load_b32 v8, v0 offset:784
	s_waitcnt lgkmcnt(0)
	v_and_b32_e32 v8, 15, v8
	s_delay_alu instid0(VALU_DEP_1) | instskip(SKIP_3) | instid1(SALU_CYCLE_1)
	v_cmp_eq_u32_e32 vcc_lo, 0, v8
	s_and_b32 s13, s5, vcc_lo
	s_and_not1_b32 s5, s5, exec_lo
	s_and_b32 s13, s13, exec_lo
	s_or_b32 s5, s5, s13
.LBB2_651:                              ;   in Loop: Header=BB2_568 Depth=2
	s_or_b32 exec_lo, exec_lo, s12
	s_xor_b32 s5, s5, -1
	s_delay_alu instid0(SALU_CYCLE_1) | instskip(SKIP_1) | instid1(VALU_DEP_1)
	v_cndmask_b32_e64 v8, 0, 1, s5
	;;#ASMSTART
	;;#ASMEND
	v_cmp_ne_u32_e32 vcc_lo, 0, v8
	s_mov_b32 s5, -1
	s_cbranch_vccz .LBB2_653
; %bb.652:                              ;   in Loop: Header=BB2_568 Depth=2
	s_bitcmp1_b32 s10, 0
	s_mov_b32 s5, 0
	s_mov_b32 s12, -1
	s_mov_b32 s14, 0
	s_cselect_b32 s13, -1, 0
	s_branch .LBB2_654
.LBB2_653:                              ;   in Loop: Header=BB2_568 Depth=2
	s_mov_b32 s12, 0
                                        ; implicit-def: $sgpr14
                                        ; implicit-def: $sgpr13
.LBB2_654:                              ;   in Loop: Header=BB2_568 Depth=2
	s_and_not1_b32 vcc_lo, exec_lo, s5
	s_cbranch_vccnz .LBB2_674
; %bb.655:                              ;   in Loop: Header=BB2_568 Depth=2
	v_ashrrev_i32_e32 v8, 31, v2
	v_sub_nc_u32_e32 v55, v2, v0
	s_bitcmp1_b32 s10, 0
	s_mov_b32 s5, exec_lo
	s_cselect_b32 s13, -1, 0
	v_lshrrev_b32_e32 v8, 23, v8
	s_delay_alu instid0(VALU_DEP_1) | instskip(NEXT) | instid1(VALU_DEP_1)
	v_add_nc_u32_e32 v8, v2, v8
	v_and_b32_e32 v128, 0xfffffe00, v8
	v_ashrrev_i32_e32 v8, 9, v8
	s_delay_alu instid0(VALU_DEP_2) | instskip(NEXT) | instid1(VALU_DEP_1)
	v_sub_nc_u32_e32 v130, v2, v128
	v_cmp_lt_i32_e64 s14, 15, v130
	s_delay_alu instid0(VALU_DEP_1)
	v_add_co_ci_u32_e64 v131, vcc_lo, v8, v116, s14
	v_cmpx_lt_i32_e32 15, v55
	s_cbranch_execz .LBB2_662
; %bb.656:                              ;   in Loop: Header=BB2_568 Depth=2
	s_cbranch_execnz .LBB2_1763
; %bb.657:                              ;   in Loop: Header=BB2_568 Depth=2
	ds_load_b128 v[8:11], v0
	s_mov_b32 s20, 0
	s_waitcnt lgkmcnt(0)
	v_add_co_u32 v66, vcc_lo, v8, v0
	v_add_co_ci_u32_e32 v67, vcc_lo, v9, v117, vcc_lo
	v_add_co_u32 v68, vcc_lo, v10, v0
	v_add_co_ci_u32_e32 v69, vcc_lo, v11, v117, vcc_lo
	s_delay_alu instid0(VALU_DEP_3) | instskip(NEXT) | instid1(VALU_DEP_2)
	v_dual_mov_b32 v71, v67 :: v_dual_mov_b32 v70, v66
	v_dual_mov_b32 v81, v69 :: v_dual_mov_b32 v80, v68
.LBB2_658:                              ;   Parent Loop BB2_51 Depth=1
                                        ;     Parent Loop BB2_568 Depth=2
                                        ; =>    This Loop Header: Depth=3
                                        ;         Child Loop BB2_659 Depth 4
	global_load_b128 v[8:11], v[80:81], off slc dlc
	global_load_b128 v[132:135], v[70:71], off slc dlc
	s_mov_b64 s[16:17], 0
	s_mov_b32 s15, -1
	s_waitcnt vmcnt(1)
	v_max_f64 v[8:9], v[8:9], v[8:9]
	s_waitcnt vmcnt(0)
	v_max_f64 v[132:133], v[132:133], v[132:133]
	v_max_f64 v[10:11], v[10:11], v[10:11]
	;; [unrolled: 1-line block ×3, first 2 shown]
	s_delay_alu instid0(VALU_DEP_3) | instskip(SKIP_1) | instid1(VALU_DEP_3)
	v_min_f64 v[144:145], v[132:133], v[8:9]
	v_max_f64 v[8:9], v[132:133], v[8:9]
	v_min_f64 v[132:133], v[134:135], v[10:11]
	v_max_f64 v[10:11], v[134:135], v[10:11]
	s_delay_alu instid0(VALU_DEP_3) | instskip(NEXT) | instid1(VALU_DEP_4)
	v_cndmask_b32_e64 v9, v145, v9, s13
	v_cndmask_b32_e64 v8, v144, v8, s13
	s_delay_alu instid0(VALU_DEP_3) | instskip(NEXT) | instid1(VALU_DEP_4)
	v_cndmask_b32_e64 v11, v133, v11, s13
	v_cndmask_b32_e64 v10, v132, v10, s13
.LBB2_659:                              ;   Parent Loop BB2_51 Depth=1
                                        ;     Parent Loop BB2_568 Depth=2
                                        ;       Parent Loop BB2_658 Depth=3
                                        ; =>      This Inner Loop Header: Depth=4
	s_cmp_eq_u32 s16, 0
	v_cndmask_b32_e64 v129, 0, 1, s15
	s_cselect_b32 vcc_lo, -1, 0
	s_cmp_eq_u32 s16, 1
	s_cselect_b32 s15, -1, 0
	s_delay_alu instid0(SALU_CYCLE_1) | instskip(SKIP_1) | instid1(VALU_DEP_2)
	v_cndmask_b32_e64 v132, v66, v68, s15
	v_cndmask_b32_e64 v133, v67, v69, s15
	v_add_co_u32 v134, s16, 0x200, v132
	s_delay_alu instid0(VALU_DEP_1) | instskip(SKIP_1) | instid1(VALU_DEP_3)
	v_add_co_ci_u32_e64 v135, s16, 0, v133, s16
	v_cmp_ne_u32_e64 s16, 1, v129
	v_cndmask_b32_e64 v68, v68, v134, s15
	v_cndmask_b32_e32 v66, v66, v134, vcc_lo
	s_delay_alu instid0(VALU_DEP_4)
	v_cndmask_b32_e64 v69, v69, v135, s15
	v_cndmask_b32_e32 v67, v67, v135, vcc_lo
	s_mov_b32 s15, 0
	s_and_b32 vcc_lo, exec_lo, s16
	s_mov_b64 s[16:17], 1
	global_store_b128 v[132:133], v[8:11], off glc slc dlc
	s_cbranch_vccz .LBB2_659
; %bb.660:                              ;   in Loop: Header=BB2_658 Depth=3
	v_add_co_u32 v70, vcc_lo, v70, v103
	v_add_co_ci_u32_e32 v71, vcc_lo, v71, v112, vcc_lo
	v_add_co_u32 v80, vcc_lo, v80, v103
	v_sub_nc_u32_e32 v55, v55, v96
	v_add_co_ci_u32_e32 v81, vcc_lo, v81, v112, vcc_lo
	v_add_co_u32 v66, vcc_lo, v66, v97
	v_add_co_ci_u32_e32 v67, vcc_lo, v67, v101, vcc_lo
	s_delay_alu instid0(VALU_DEP_4) | instskip(SKIP_1) | instid1(VALU_DEP_1)
	v_cmp_gt_i32_e32 vcc_lo, 16, v55
	v_add_co_u32 v68, s15, v68, v97
	v_add_co_ci_u32_e64 v69, s15, v69, v101, s15
	v_sub_nc_u32_e32 v131, v131, v85
	s_or_b32 s20, vcc_lo, s20
	s_delay_alu instid0(SALU_CYCLE_1)
	s_and_not1_b32 exec_lo, exec_lo, s20
	s_cbranch_execnz .LBB2_658
; %bb.661:                              ;   in Loop: Header=BB2_568 Depth=2
	s_or_b32 exec_lo, exec_lo, s20
.LBB2_662:                              ;   in Loop: Header=BB2_568 Depth=2
	s_delay_alu instid0(SALU_CYCLE_1) | instskip(SKIP_2) | instid1(VALU_DEP_1)
	s_or_b32 exec_lo, exec_lo, s5
	v_and_b32_e32 v9, 8, v2
	s_mov_b32 s5, exec_lo
                                        ; implicit-def: $vgpr80
                                        ; implicit-def: $vgpr55
                                        ; implicit-def: $vgpr81
                                        ; implicit-def: $vgpr8
	v_cndmask_b32_e64 v129, v130, v9, s14
	s_delay_alu instid0(VALU_DEP_1)
	v_cmpx_ne_u32_e32 0, v129
	s_cbranch_execz .LBB2_673
; %bb.663:                              ;   in Loop: Header=BB2_568 Depth=2
	v_cmp_lt_i32_e32 vcc_lo, 0, v131
	v_ashrrev_i32_e32 v11, 31, v129
	v_sub_nc_u32_e32 v9, v130, v9
	s_mov_b32 s34, exec_lo
	v_cndmask_b32_e32 v8, 0, v85, vcc_lo
	s_delay_alu instid0(VALU_DEP_3) | instskip(NEXT) | instid1(VALU_DEP_3)
	v_lshrrev_b32_e32 v11, 23, v11
	v_cndmask_b32_e64 v9, 0, v9, s14
	s_delay_alu instid0(VALU_DEP_3) | instskip(NEXT) | instid1(VALU_DEP_3)
	v_sub_nc_u32_e32 v8, v8, v131
	v_add_nc_u32_e32 v11, v129, v11
	s_delay_alu instid0(VALU_DEP_3) | instskip(NEXT) | instid1(VALU_DEP_3)
	v_add_nc_u32_e32 v128, v9, v128
	v_lshl_add_u32 v8, v8, 5, v87
	s_delay_alu instid0(VALU_DEP_3) | instskip(SKIP_1) | instid1(VALU_DEP_3)
	v_and_b32_e32 v131, 0xfffffe00, v11
	v_ashrrev_i32_e32 v11, 9, v11
	v_ashrrev_i32_e32 v10, 31, v8
	s_delay_alu instid0(VALU_DEP_3) | instskip(NEXT) | instid1(VALU_DEP_2)
	v_sub_nc_u32_e32 v130, v129, v131
	v_lshrrev_b32_e32 v10, 27, v10
	s_delay_alu instid0(VALU_DEP_2) | instskip(NEXT) | instid1(VALU_DEP_2)
	v_cmp_lt_i32_e64 s14, 15, v130
	v_add_nc_u32_e32 v10, v8, v10
	s_delay_alu instid0(VALU_DEP_2) | instskip(NEXT) | instid1(VALU_DEP_2)
	v_add_co_ci_u32_e64 v11, vcc_lo, 0, v11, s14
	v_and_b32_e32 v55, 0xffffffe0, v10
	v_ashrrev_i32_e32 v10, 5, v10
	s_delay_alu instid0(VALU_DEP_2) | instskip(NEXT) | instid1(VALU_DEP_2)
	v_sub_nc_u32_e32 v132, v8, v55
	v_sub_nc_u32_e32 v133, v11, v10
	s_delay_alu instid0(VALU_DEP_2) | instskip(NEXT) | instid1(VALU_DEP_1)
	v_lshlrev_b32_e32 v8, 4, v132
	v_lshl_add_u32 v8, v10, 9, v8
	s_delay_alu instid0(VALU_DEP_1) | instskip(NEXT) | instid1(VALU_DEP_1)
	v_sub_nc_u32_e32 v55, v129, v8
	v_cmpx_lt_i32_e32 15, v55
	s_cbranch_execz .LBB2_670
; %bb.664:                              ;   in Loop: Header=BB2_568 Depth=2
	s_cbranch_execnz .LBB2_1827
; %bb.665:                              ;   in Loop: Header=BB2_568 Depth=2
	ds_load_b128 v[66:69], v0
	v_add_nc_u32_e32 v8, v8, v128
	s_mov_b32 s20, 0
	s_delay_alu instid0(VALU_DEP_1) | instskip(SKIP_2) | instid1(VALU_DEP_2)
	v_ashrrev_i32_e32 v9, 31, v8
	s_waitcnt lgkmcnt(0)
	v_add_co_u32 v66, vcc_lo, v66, v8
	v_add_co_ci_u32_e32 v67, vcc_lo, v67, v9, vcc_lo
	s_delay_alu instid0(VALU_DEP_1) | instskip(SKIP_2) | instid1(VALU_DEP_1)
	v_mov_b32_e32 v71, v67
	v_add_co_u32 v68, vcc_lo, v68, v8
	v_add_co_ci_u32_e32 v69, vcc_lo, v69, v9, vcc_lo
	v_dual_mov_b32 v70, v66 :: v_dual_mov_b32 v81, v69
	s_delay_alu instid0(VALU_DEP_3)
	v_mov_b32_e32 v80, v68
.LBB2_666:                              ;   Parent Loop BB2_51 Depth=1
                                        ;     Parent Loop BB2_568 Depth=2
                                        ; =>    This Loop Header: Depth=3
                                        ;         Child Loop BB2_667 Depth 4
	global_load_b128 v[8:11], v[80:81], off slc dlc
	global_load_b128 v[144:147], v[70:71], off slc dlc
	s_mov_b64 s[16:17], 0
	s_mov_b32 s15, -1
	s_waitcnt vmcnt(1)
	v_max_f64 v[8:9], v[8:9], v[8:9]
	s_waitcnt vmcnt(0)
	v_max_f64 v[134:135], v[144:145], v[144:145]
	v_max_f64 v[10:11], v[10:11], v[10:11]
	;; [unrolled: 1-line block ×3, first 2 shown]
	s_delay_alu instid0(VALU_DEP_3) | instskip(SKIP_1) | instid1(VALU_DEP_3)
	v_min_f64 v[146:147], v[134:135], v[8:9]
	v_max_f64 v[8:9], v[134:135], v[8:9]
	v_min_f64 v[134:135], v[144:145], v[10:11]
	v_max_f64 v[10:11], v[144:145], v[10:11]
	s_delay_alu instid0(VALU_DEP_3) | instskip(NEXT) | instid1(VALU_DEP_4)
	v_cndmask_b32_e64 v9, v147, v9, s13
	v_cndmask_b32_e64 v8, v146, v8, s13
	s_delay_alu instid0(VALU_DEP_3) | instskip(NEXT) | instid1(VALU_DEP_4)
	v_cndmask_b32_e64 v11, v135, v11, s13
	v_cndmask_b32_e64 v10, v134, v10, s13
.LBB2_667:                              ;   Parent Loop BB2_51 Depth=1
                                        ;     Parent Loop BB2_568 Depth=2
                                        ;       Parent Loop BB2_666 Depth=3
                                        ; =>      This Inner Loop Header: Depth=4
	s_cmp_eq_u32 s16, 0
	v_cndmask_b32_e64 v144, 0, 1, s15
	s_cselect_b32 vcc_lo, -1, 0
	s_cmp_eq_u32 s16, 1
	s_cselect_b32 s15, -1, 0
	s_delay_alu instid0(SALU_CYCLE_1) | instskip(SKIP_1) | instid1(VALU_DEP_2)
	v_cndmask_b32_e64 v134, v66, v68, s15
	v_cndmask_b32_e64 v135, v67, v69, s15
	v_add_co_u32 v145, s16, 0x200, v134
	s_delay_alu instid0(VALU_DEP_1) | instskip(SKIP_1) | instid1(VALU_DEP_3)
	v_add_co_ci_u32_e64 v146, s16, 0, v135, s16
	v_cmp_ne_u32_e64 s16, 1, v144
	v_cndmask_b32_e64 v68, v68, v145, s15
	v_cndmask_b32_e32 v66, v66, v145, vcc_lo
	s_delay_alu instid0(VALU_DEP_4)
	v_cndmask_b32_e64 v69, v69, v146, s15
	v_cndmask_b32_e32 v67, v67, v146, vcc_lo
	s_mov_b32 s15, 0
	s_and_b32 vcc_lo, exec_lo, s16
	s_mov_b64 s[16:17], 1
	global_store_b128 v[134:135], v[8:11], off glc slc dlc
	s_cbranch_vccz .LBB2_667
; %bb.668:                              ;   in Loop: Header=BB2_666 Depth=3
	v_add_co_u32 v70, vcc_lo, v70, v103
	v_add_co_ci_u32_e32 v71, vcc_lo, v71, v112, vcc_lo
	v_add_co_u32 v80, vcc_lo, v80, v103
	v_sub_nc_u32_e32 v55, v55, v96
	v_add_co_ci_u32_e32 v81, vcc_lo, v81, v112, vcc_lo
	v_add_co_u32 v66, vcc_lo, v66, v97
	v_add_co_ci_u32_e32 v67, vcc_lo, v67, v101, vcc_lo
	s_delay_alu instid0(VALU_DEP_4) | instskip(SKIP_1) | instid1(VALU_DEP_1)
	v_cmp_gt_i32_e32 vcc_lo, 16, v55
	v_add_co_u32 v68, s15, v68, v97
	v_add_co_ci_u32_e64 v69, s15, v69, v101, s15
	v_sub_nc_u32_e32 v133, v133, v85
	s_or_b32 s20, vcc_lo, s20
	s_delay_alu instid0(SALU_CYCLE_1)
	s_and_not1_b32 exec_lo, exec_lo, s20
	s_cbranch_execnz .LBB2_666
; %bb.669:                              ;   in Loop: Header=BB2_568 Depth=2
	s_or_b32 exec_lo, exec_lo, s20
.LBB2_670:                              ;   in Loop: Header=BB2_568 Depth=2
	s_delay_alu instid0(SALU_CYCLE_1) | instskip(SKIP_3) | instid1(VALU_DEP_1)
	s_or_b32 exec_lo, exec_lo, s34
	v_and_b32_e32 v9, 8, v129
	s_mov_b32 s16, s12
	s_mov_b32 s15, exec_lo
                                        ; implicit-def: $vgpr55
                                        ; implicit-def: $vgpr81
                                        ; implicit-def: $vgpr8
	v_cndmask_b32_e64 v80, v130, v9, s14
	s_delay_alu instid0(VALU_DEP_1)
	v_cmpx_ne_u32_e32 0, v80
	s_cbranch_execz .LBB2_672
; %bb.671:                              ;   in Loop: Header=BB2_568 Depth=2
	v_cmp_lt_i32_e32 vcc_lo, 0, v133
	v_sub_nc_u32_e32 v9, v130, v9
	s_or_b32 s16, s12, exec_lo
	v_cndmask_b32_e32 v8, 0, v85, vcc_lo
	s_delay_alu instid0(VALU_DEP_2) | instskip(NEXT) | instid1(VALU_DEP_2)
	v_cndmask_b32_e64 v9, 0, v9, s14
	v_sub_nc_u32_e32 v8, v8, v133
	s_delay_alu instid0(VALU_DEP_2) | instskip(NEXT) | instid1(VALU_DEP_2)
	v_add3_u32 v55, v131, v128, v9
	v_lshl_add_u32 v10, v8, 5, v132
	s_delay_alu instid0(VALU_DEP_1) | instskip(NEXT) | instid1(VALU_DEP_1)
	v_ashrrev_i32_e32 v8, 31, v10
	v_lshrrev_b32_e32 v8, 27, v8
	s_delay_alu instid0(VALU_DEP_1) | instskip(NEXT) | instid1(VALU_DEP_1)
	v_add_nc_u32_e32 v8, v10, v8
	v_and_b32_e32 v11, 0xffffffe0, v8
	v_ashrrev_i32_e32 v8, 5, v8
	s_delay_alu instid0(VALU_DEP_2)
	v_sub_nc_u32_e32 v81, v10, v11
.LBB2_672:                              ;   in Loop: Header=BB2_568 Depth=2
	s_or_b32 exec_lo, exec_lo, s15
	s_delay_alu instid0(SALU_CYCLE_1) | instskip(SKIP_1) | instid1(SALU_CYCLE_1)
	s_and_not1_b32 s12, s12, exec_lo
	s_and_b32 s14, s16, exec_lo
	s_or_b32 s12, s12, s14
.LBB2_673:                              ;   in Loop: Header=BB2_568 Depth=2
	s_or_b32 exec_lo, exec_lo, s5
	s_branch .LBB2_675
.LBB2_674:                              ;   in Loop: Header=BB2_568 Depth=2
	v_dual_mov_b32 v55, s14 :: v_dual_mov_b32 v80, v2
	v_dual_mov_b32 v81, v87 :: v_dual_mov_b32 v8, v86
.LBB2_675:                              ;   in Loop: Header=BB2_568 Depth=2
	s_and_saveexec_b32 s5, s12
	s_cbranch_execz .LBB2_691
; %bb.676:                              ;   in Loop: Header=BB2_568 Depth=2
	s_delay_alu instid0(VALU_DEP_2) | instskip(NEXT) | instid1(VALU_DEP_2)
	v_ashrrev_i32_e32 v9, 31, v80
	v_lshlrev_b32_e32 v10, 3, v81
	s_mov_b32 s12, exec_lo
	s_delay_alu instid0(VALU_DEP_2) | instskip(NEXT) | instid1(VALU_DEP_1)
	v_lshrrev_b32_e32 v9, 24, v9
	v_add_nc_u32_e32 v9, v80, v9
	s_delay_alu instid0(VALU_DEP_1) | instskip(SKIP_2) | instid1(VALU_DEP_3)
	v_and_b32_e32 v128, 0xffffff00, v9
	v_ashrrev_i32_e32 v11, 8, v9
	v_lshl_add_u32 v9, v8, 8, v10
	v_sub_nc_u32_e32 v129, v80, v128
	s_delay_alu instid0(VALU_DEP_3) | instskip(NEXT) | instid1(VALU_DEP_3)
	v_sub_nc_u32_e32 v8, v11, v8
	v_sub_nc_u32_e32 v131, v80, v9
	s_delay_alu instid0(VALU_DEP_3) | instskip(NEXT) | instid1(VALU_DEP_1)
	v_cmp_lt_i32_e64 s14, 7, v129
	v_add_co_ci_u32_e64 v130, vcc_lo, 0, v8, s14
	s_delay_alu instid0(VALU_DEP_3)
	v_cmpx_lt_i32_e32 7, v131
	s_cbranch_execz .LBB2_683
; %bb.677:                              ;   in Loop: Header=BB2_568 Depth=2
	s_cbranch_execnz .LBB2_1775
; %bb.678:                              ;   in Loop: Header=BB2_568 Depth=2
	ds_load_b128 v[66:69], v0
	v_add_nc_u32_e32 v10, v9, v55
	s_mov_b32 s20, 0
	s_delay_alu instid0(VALU_DEP_1) | instskip(SKIP_2) | instid1(VALU_DEP_2)
	v_ashrrev_i32_e32 v11, 31, v10
	s_waitcnt lgkmcnt(0)
	v_add_co_u32 v8, vcc_lo, v66, v10
	v_add_co_ci_u32_e32 v9, vcc_lo, v67, v11, vcc_lo
	v_add_co_u32 v10, vcc_lo, v68, v10
	v_add_co_ci_u32_e32 v11, vcc_lo, v69, v11, vcc_lo
	s_delay_alu instid0(VALU_DEP_3) | instskip(NEXT) | instid1(VALU_DEP_2)
	v_dual_mov_b32 v67, v9 :: v_dual_mov_b32 v66, v8
	v_dual_mov_b32 v69, v11 :: v_dual_mov_b32 v68, v10
.LBB2_679:                              ;   Parent Loop BB2_51 Depth=1
                                        ;     Parent Loop BB2_568 Depth=2
                                        ; =>    This Loop Header: Depth=3
                                        ;         Child Loop BB2_680 Depth 4
	flat_load_b64 v[70:71], v[68:69] slc dlc
	flat_load_b64 v[132:133], v[66:67] slc dlc
	s_mov_b64 s[16:17], 0
	s_mov_b32 s15, -1
	s_waitcnt vmcnt(1) lgkmcnt(1)
	v_max_f64 v[70:71], v[70:71], v[70:71]
	s_waitcnt vmcnt(0) lgkmcnt(0)
	v_max_f64 v[132:133], v[132:133], v[132:133]
	s_delay_alu instid0(VALU_DEP_1) | instskip(SKIP_1) | instid1(VALU_DEP_1)
	v_min_f64 v[134:135], v[132:133], v[70:71]
	v_max_f64 v[70:71], v[132:133], v[70:71]
	v_cndmask_b32_e64 v71, v135, v71, s13
	s_delay_alu instid0(VALU_DEP_2)
	v_cndmask_b32_e64 v70, v134, v70, s13
.LBB2_680:                              ;   Parent Loop BB2_51 Depth=1
                                        ;     Parent Loop BB2_568 Depth=2
                                        ;       Parent Loop BB2_679 Depth=3
                                        ; =>      This Inner Loop Header: Depth=4
	s_cmp_eq_u32 s16, 0
	v_cndmask_b32_e64 v134, 0, 1, s15
	s_cselect_b32 vcc_lo, -1, 0
	s_cmp_eq_u32 s16, 1
	s_cselect_b32 s15, -1, 0
	s_delay_alu instid0(SALU_CYCLE_1) | instskip(SKIP_1) | instid1(VALU_DEP_2)
	v_cndmask_b32_e64 v132, v8, v10, s15
	v_cndmask_b32_e64 v133, v9, v11, s15
	v_add_co_u32 v135, s16, 0x100, v132
	s_delay_alu instid0(VALU_DEP_1) | instskip(SKIP_1) | instid1(VALU_DEP_3)
	v_add_co_ci_u32_e64 v144, s16, 0, v133, s16
	v_cmp_ne_u32_e64 s16, 1, v134
	v_cndmask_b32_e64 v10, v10, v135, s15
	v_cndmask_b32_e32 v8, v8, v135, vcc_lo
	s_delay_alu instid0(VALU_DEP_4)
	v_cndmask_b32_e64 v11, v11, v144, s15
	v_cndmask_b32_e32 v9, v9, v144, vcc_lo
	s_mov_b32 s15, 0
	s_and_b32 vcc_lo, exec_lo, s16
	s_mov_b64 s[16:17], 1
	flat_store_b64 v[132:133], v[70:71] glc slc dlc
	s_cbranch_vccz .LBB2_680
; %bb.681:                              ;   in Loop: Header=BB2_679 Depth=3
	v_add_co_u32 v66, vcc_lo, v66, v114
	v_add_co_ci_u32_e32 v67, vcc_lo, v67, v115, vcc_lo
	v_add_co_u32 v68, vcc_lo, v68, v114
	v_sub_nc_u32_e32 v131, v131, v98
	v_add_co_ci_u32_e32 v69, vcc_lo, v69, v115, vcc_lo
	v_add_co_u32 v8, vcc_lo, v8, v102
	v_add_co_ci_u32_e32 v9, vcc_lo, v9, v113, vcc_lo
	s_delay_alu instid0(VALU_DEP_4) | instskip(SKIP_1) | instid1(VALU_DEP_1)
	v_cmp_gt_i32_e32 vcc_lo, 8, v131
	v_add_co_u32 v10, s15, v10, v102
	v_add_co_ci_u32_e64 v11, s15, v11, v113, s15
	v_sub_nc_u32_e32 v130, v130, v85
	s_or_b32 s20, vcc_lo, s20
	s_delay_alu instid0(SALU_CYCLE_1)
	s_and_not1_b32 exec_lo, exec_lo, s20
	s_cbranch_execnz .LBB2_679
; %bb.682:                              ;   in Loop: Header=BB2_568 Depth=2
	s_or_b32 exec_lo, exec_lo, s20
.LBB2_683:                              ;   in Loop: Header=BB2_568 Depth=2
	s_delay_alu instid0(SALU_CYCLE_1) | instskip(SKIP_2) | instid1(VALU_DEP_1)
	s_or_b32 exec_lo, exec_lo, s12
	v_and_b32_e32 v8, 7, v80
	s_mov_b32 s12, exec_lo
	v_cndmask_b32_e64 v9, v129, v8, s14
	s_delay_alu instid0(VALU_DEP_1)
	v_cmpx_ne_u32_e32 0, v9
	s_cbranch_execz .LBB2_690
; %bb.684:                              ;   in Loop: Header=BB2_568 Depth=2
	v_cmp_lt_i32_e32 vcc_lo, 0, v130
	v_cndmask_b32_e32 v10, 0, v85, vcc_lo
	s_delay_alu instid0(VALU_DEP_1) | instskip(NEXT) | instid1(VALU_DEP_1)
	v_sub_nc_u32_e32 v10, v10, v130
	v_lshl_add_u32 v10, v10, 5, v81
	s_delay_alu instid0(VALU_DEP_1) | instskip(NEXT) | instid1(VALU_DEP_1)
	v_ashrrev_i32_e32 v11, 31, v10
	v_lshrrev_b32_e32 v11, 27, v11
	s_delay_alu instid0(VALU_DEP_1) | instskip(NEXT) | instid1(VALU_DEP_1)
	v_add_nc_u32_e32 v11, v10, v11
	v_and_b32_e32 v66, 0x1fffffe0, v11
	v_lshlrev_b32_e32 v11, 3, v11
	s_delay_alu instid0(VALU_DEP_2) | instskip(NEXT) | instid1(VALU_DEP_2)
	v_sub_nc_u32_e32 v10, v10, v66
	v_and_b32_e32 v11, 0xffffff00, v11
	s_delay_alu instid0(VALU_DEP_1) | instskip(NEXT) | instid1(VALU_DEP_1)
	v_lshl_add_u32 v10, v10, 3, v11
	v_sub_nc_u32_e32 v80, v9, v10
	s_delay_alu instid0(VALU_DEP_1)
	v_cmp_lt_i32_e32 vcc_lo, 7, v80
	s_and_b32 exec_lo, exec_lo, vcc_lo
	s_cbranch_execz .LBB2_690
; %bb.685:                              ;   in Loop: Header=BB2_568 Depth=2
	s_cbranch_execnz .LBB2_1841
; %bb.686:                              ;   in Loop: Header=BB2_568 Depth=2
	ds_load_b128 v[66:69], v0
	v_sub_nc_u32_e32 v8, v129, v8
	v_add_nc_u32_e32 v9, v128, v55
	s_mov_b32 s16, 0
	s_delay_alu instid0(VALU_DEP_2) | instskip(NEXT) | instid1(VALU_DEP_1)
	v_cndmask_b32_e64 v8, 0, v8, s14
	v_add3_u32 v10, v9, v8, v10
	s_delay_alu instid0(VALU_DEP_1) | instskip(SKIP_2) | instid1(VALU_DEP_2)
	v_ashrrev_i32_e32 v11, 31, v10
	s_waitcnt lgkmcnt(0)
	v_add_co_u32 v8, vcc_lo, v66, v10
	v_add_co_ci_u32_e32 v9, vcc_lo, v67, v11, vcc_lo
	v_add_co_u32 v10, vcc_lo, v68, v10
	v_add_co_ci_u32_e32 v11, vcc_lo, v69, v11, vcc_lo
	s_delay_alu instid0(VALU_DEP_3) | instskip(NEXT) | instid1(VALU_DEP_2)
	v_dual_mov_b32 v67, v9 :: v_dual_mov_b32 v66, v8
	v_dual_mov_b32 v69, v11 :: v_dual_mov_b32 v68, v10
.LBB2_687:                              ;   Parent Loop BB2_51 Depth=1
                                        ;     Parent Loop BB2_568 Depth=2
                                        ; =>    This Loop Header: Depth=3
                                        ;         Child Loop BB2_688 Depth 4
	flat_load_b64 v[70:71], v[68:69] slc dlc
	flat_load_b64 v[128:129], v[66:67] slc dlc
	s_mov_b64 s[14:15], 0
	s_mov_b32 s17, -1
	s_waitcnt vmcnt(1) lgkmcnt(1)
	v_max_f64 v[70:71], v[70:71], v[70:71]
	s_waitcnt vmcnt(0) lgkmcnt(0)
	v_max_f64 v[128:129], v[128:129], v[128:129]
	s_delay_alu instid0(VALU_DEP_1) | instskip(SKIP_1) | instid1(VALU_DEP_1)
	v_min_f64 v[130:131], v[128:129], v[70:71]
	v_max_f64 v[70:71], v[128:129], v[70:71]
	v_cndmask_b32_e64 v71, v131, v71, s13
	s_delay_alu instid0(VALU_DEP_2)
	v_cndmask_b32_e64 v70, v130, v70, s13
.LBB2_688:                              ;   Parent Loop BB2_51 Depth=1
                                        ;     Parent Loop BB2_568 Depth=2
                                        ;       Parent Loop BB2_687 Depth=3
                                        ; =>      This Inner Loop Header: Depth=4
	s_cmp_eq_u32 s14, 0
	v_cndmask_b32_e64 v55, 0, 1, s17
	s_cselect_b32 vcc_lo, -1, 0
	s_cmp_eq_u32 s14, 1
	s_mov_b32 s17, 0
	s_cselect_b32 s14, -1, 0
	s_delay_alu instid0(SALU_CYCLE_1) | instskip(SKIP_1) | instid1(VALU_DEP_2)
	v_cndmask_b32_e64 v128, v8, v10, s14
	v_cndmask_b32_e64 v129, v9, v11, s14
	v_add_co_u32 v81, s15, 0x100, v128
	s_delay_alu instid0(VALU_DEP_1) | instskip(SKIP_1) | instid1(VALU_DEP_3)
	v_add_co_ci_u32_e64 v130, s15, 0, v129, s15
	v_cmp_ne_u32_e64 s15, 1, v55
	v_cndmask_b32_e64 v10, v10, v81, s14
	v_cndmask_b32_e32 v8, v8, v81, vcc_lo
	s_delay_alu instid0(VALU_DEP_4)
	v_cndmask_b32_e64 v11, v11, v130, s14
	v_cndmask_b32_e32 v9, v9, v130, vcc_lo
	s_and_b32 vcc_lo, exec_lo, s15
	s_mov_b64 s[14:15], 1
	flat_store_b64 v[128:129], v[70:71] glc slc dlc
	s_cbranch_vccz .LBB2_688
; %bb.689:                              ;   in Loop: Header=BB2_687 Depth=3
	v_add_co_u32 v66, vcc_lo, v66, v114
	v_add_co_ci_u32_e32 v67, vcc_lo, v67, v115, vcc_lo
	v_add_co_u32 v68, vcc_lo, v68, v114
	v_sub_nc_u32_e32 v80, v80, v98
	v_add_co_ci_u32_e32 v69, vcc_lo, v69, v115, vcc_lo
	v_add_co_u32 v8, vcc_lo, v8, v102
	v_add_co_ci_u32_e32 v9, vcc_lo, v9, v113, vcc_lo
	s_delay_alu instid0(VALU_DEP_4) | instskip(SKIP_1) | instid1(VALU_DEP_1)
	v_cmp_gt_i32_e32 vcc_lo, 8, v80
	v_add_co_u32 v10, s14, v10, v102
	v_add_co_ci_u32_e64 v11, s14, v11, v113, s14
	s_or_b32 s16, vcc_lo, s16
	s_delay_alu instid0(SALU_CYCLE_1)
	s_and_not1_b32 exec_lo, exec_lo, s16
	s_cbranch_execnz .LBB2_687
.LBB2_690:                              ;   in Loop: Header=BB2_568 Depth=2
	s_or_b32 exec_lo, exec_lo, s12
.LBB2_691:                              ;   in Loop: Header=BB2_568 Depth=2
	s_delay_alu instid0(SALU_CYCLE_1)
	s_or_b32 exec_lo, exec_lo, s5
	s_mov_b32 s5, 0
.LBB2_692:                              ;   in Loop: Header=BB2_568 Depth=2
	s_delay_alu instid0(SALU_CYCLE_1)
	s_and_b32 vcc_lo, exec_lo, s5
	s_cbranch_vccz .LBB2_730
; %bb.693:                              ;   in Loop: Header=BB2_568 Depth=2
	s_mov_b32 s5, -1
	s_mov_b32 s12, exec_lo
	v_readlane_b32 s13, v42, 2
	s_delay_alu instid0(VALU_DEP_1) | instskip(NEXT) | instid1(SALU_CYCLE_1)
	s_and_b32 s13, s12, s13
	s_mov_b32 exec_lo, s13
	s_cbranch_execz .LBB2_695
; %bb.694:                              ;   in Loop: Header=BB2_568 Depth=2
	ds_load_b32 v8, v0 offset:720
	s_waitcnt lgkmcnt(0)
	v_and_b32_e32 v8, 15, v8
	s_delay_alu instid0(VALU_DEP_1)
	v_cmp_eq_u32_e32 vcc_lo, 0, v8
	s_or_not1_b32 s5, vcc_lo, exec_lo
.LBB2_695:                              ;   in Loop: Header=BB2_568 Depth=2
	s_or_b32 exec_lo, exec_lo, s12
	s_delay_alu instid0(SALU_CYCLE_1) | instskip(SKIP_1) | instid1(VALU_DEP_1)
	s_mov_b32 s12, exec_lo
	v_readlane_b32 s13, v42, 3
	s_and_b32 s13, s12, s13
	s_delay_alu instid0(SALU_CYCLE_1)
	s_mov_b32 exec_lo, s13
	s_cbranch_execz .LBB2_697
; %bb.696:                              ;   in Loop: Header=BB2_568 Depth=2
	ds_load_b32 v8, v0 offset:784
	s_waitcnt lgkmcnt(0)
	v_and_b32_e32 v8, 15, v8
	s_delay_alu instid0(VALU_DEP_1) | instskip(SKIP_3) | instid1(SALU_CYCLE_1)
	v_cmp_eq_u32_e32 vcc_lo, 0, v8
	s_and_b32 s13, s5, vcc_lo
	s_and_not1_b32 s5, s5, exec_lo
	s_and_b32 s13, s13, exec_lo
	s_or_b32 s5, s5, s13
.LBB2_697:                              ;   in Loop: Header=BB2_568 Depth=2
	s_or_b32 exec_lo, exec_lo, s12
	s_xor_b32 s5, s5, -1
	s_mov_b32 s12, -1
	v_cndmask_b32_e64 v8, 0, 1, s5
	;;#ASMSTART
	;;#ASMEND
	s_delay_alu instid0(VALU_DEP_1)
	v_cmp_ne_u32_e32 vcc_lo, 0, v8
	s_cbranch_vccz .LBB2_699
; %bb.698:                              ;   in Loop: Header=BB2_568 Depth=2
	s_bitcmp1_b32 s10, 0
	s_mov_b32 s12, 0
	s_mov_b32 s5, -1
	s_mov_b32 s14, 0
	s_cselect_b32 s13, -1, 0
	s_branch .LBB2_700
.LBB2_699:                              ;   in Loop: Header=BB2_568 Depth=2
	s_mov_b32 s5, 0
                                        ; implicit-def: $sgpr14
                                        ; implicit-def: $sgpr13
.LBB2_700:                              ;   in Loop: Header=BB2_568 Depth=2
	s_and_not1_b32 vcc_lo, exec_lo, s12
	s_cbranch_vccnz .LBB2_716
; %bb.701:                              ;   in Loop: Header=BB2_568 Depth=2
	v_ashrrev_i32_e32 v8, 31, v2
	v_sub_nc_u32_e32 v55, v2, v0
	s_bitcmp1_b32 s10, 0
	s_mov_b32 s10, exec_lo
	s_delay_alu instid0(VALU_DEP_2) | instskip(NEXT) | instid1(VALU_DEP_1)
	v_lshrrev_b32_e32 v8, 23, v8
	v_add_nc_u32_e32 v8, v2, v8
	s_delay_alu instid0(VALU_DEP_1) | instskip(SKIP_1) | instid1(VALU_DEP_2)
	v_and_b32_e32 v69, 0xfffffe00, v8
	v_ashrrev_i32_e32 v8, 9, v8
	v_sub_nc_u32_e32 v71, v2, v69
	s_delay_alu instid0(VALU_DEP_1) | instskip(NEXT) | instid1(VALU_DEP_3)
	v_cmp_lt_i32_e32 vcc_lo, 15, v71
	v_add_co_ci_u32_e64 v80, s13, v8, v116, vcc_lo
	s_cselect_b32 s13, -1, 0
	v_cmpx_lt_i32_e32 15, v55
	s_cbranch_execz .LBB2_706
; %bb.702:                              ;   in Loop: Header=BB2_568 Depth=2
	s_cbranch_execnz .LBB2_1783
; %bb.703:                              ;   in Loop: Header=BB2_568 Depth=2
	ds_load_b128 v[8:11], v0
	ds_load_b64 v[66:67], v0
	s_mov_b32 s12, 0
	s_waitcnt lgkmcnt(1)
	v_add_co_u32 v8, s14, v8, v0
	s_delay_alu instid0(VALU_DEP_1) | instskip(SKIP_1) | instid1(VALU_DEP_1)
	v_add_co_ci_u32_e64 v9, s14, v9, v117, s14
	v_add_co_u32 v10, s14, v10, v0
	v_add_co_ci_u32_e64 v11, s14, v11, v117, s14
	s_waitcnt lgkmcnt(0)
	v_add_co_u32 v66, s14, v66, v0
	s_delay_alu instid0(VALU_DEP_1)
	v_add_co_ci_u32_e64 v67, s14, v67, v117, s14
.LBB2_704:                              ;   Parent Loop BB2_51 Depth=1
                                        ;     Parent Loop BB2_568 Depth=2
                                        ; =>    This Inner Loop Header: Depth=3
	global_load_b128 v[128:131], v[10:11], off slc dlc
	global_load_b128 v[132:135], v[8:9], off slc dlc
	v_add_co_u32 v8, s14, v8, v103
	v_sub_nc_u32_e32 v55, v55, v96
	v_add_co_ci_u32_e64 v9, s14, v9, v112, s14
	v_add_co_u32 v10, s14, v10, v103
	s_delay_alu instid0(VALU_DEP_1) | instskip(NEXT) | instid1(VALU_DEP_4)
	v_add_co_ci_u32_e64 v11, s14, v11, v112, s14
	v_cmp_gt_i32_e64 s14, 16, v55
	v_sub_nc_u32_e32 v80, v80, v85
	s_delay_alu instid0(VALU_DEP_2)
	s_or_b32 s12, s14, s12
	s_waitcnt vmcnt(1)
	v_max_f64 v[128:129], v[128:129], v[128:129]
	s_waitcnt vmcnt(0)
	v_max_f64 v[132:133], v[132:133], v[132:133]
	v_max_f64 v[130:131], v[130:131], v[130:131]
	;; [unrolled: 1-line block ×3, first 2 shown]
	s_delay_alu instid0(VALU_DEP_3) | instskip(SKIP_1) | instid1(VALU_DEP_3)
	v_min_f64 v[144:145], v[132:133], v[128:129]
	v_max_f64 v[128:129], v[132:133], v[128:129]
	v_min_f64 v[132:133], v[134:135], v[130:131]
	v_max_f64 v[130:131], v[134:135], v[130:131]
	s_delay_alu instid0(VALU_DEP_3) | instskip(NEXT) | instid1(VALU_DEP_4)
	v_cndmask_b32_e64 v129, v145, v129, s13
	v_cndmask_b32_e64 v128, v144, v128, s13
	s_delay_alu instid0(VALU_DEP_3) | instskip(NEXT) | instid1(VALU_DEP_4)
	v_cndmask_b32_e64 v131, v133, v131, s13
	v_cndmask_b32_e64 v130, v132, v130, s13
	global_store_b128 v[66:67], v[128:131], off glc slc dlc
	v_add_co_u32 v66, s15, v66, v103
	s_delay_alu instid0(VALU_DEP_1)
	v_add_co_ci_u32_e64 v67, s15, v67, v112, s15
	s_and_not1_b32 exec_lo, exec_lo, s12
	s_cbranch_execnz .LBB2_704
; %bb.705:                              ;   in Loop: Header=BB2_568 Depth=2
	s_or_b32 exec_lo, exec_lo, s12
.LBB2_706:                              ;   in Loop: Header=BB2_568 Depth=2
	s_delay_alu instid0(SALU_CYCLE_1) | instskip(SKIP_2) | instid1(VALU_DEP_1)
	s_or_b32 exec_lo, exec_lo, s10
	v_and_b32_e32 v9, 8, v2
	s_mov_b32 s10, exec_lo
                                        ; implicit-def: $vgpr2
                                        ; implicit-def: $vgpr55
                                        ; implicit-def: $vgpr68
                                        ; implicit-def: $vgpr8
	v_cndmask_b32_e32 v70, v71, v9, vcc_lo
	s_delay_alu instid0(VALU_DEP_1)
	v_cmpx_ne_u32_e32 0, v70
	s_cbranch_execz .LBB2_715
; %bb.707:                              ;   in Loop: Header=BB2_568 Depth=2
	v_cmp_lt_i32_e64 s14, 0, v80
	v_ashrrev_i32_e32 v10, 31, v70
	v_sub_nc_u32_e32 v9, v71, v9
	s_mov_b32 s12, exec_lo
	s_delay_alu instid0(VALU_DEP_3) | instskip(NEXT) | instid1(VALU_DEP_3)
	v_cndmask_b32_e64 v2, 0, v85, s14
	v_lshrrev_b32_e32 v10, 23, v10
	s_delay_alu instid0(VALU_DEP_3) | instskip(NEXT) | instid1(VALU_DEP_3)
	v_cndmask_b32_e32 v9, 0, v9, vcc_lo
	v_sub_nc_u32_e32 v2, v2, v80
	s_delay_alu instid0(VALU_DEP_3) | instskip(NEXT) | instid1(VALU_DEP_3)
	v_add_nc_u32_e32 v10, v70, v10
	v_add_nc_u32_e32 v69, v9, v69
	s_delay_alu instid0(VALU_DEP_3) | instskip(NEXT) | instid1(VALU_DEP_3)
	v_lshl_add_u32 v2, v2, 5, v87
	v_and_b32_e32 v80, 0xfffffe00, v10
	v_ashrrev_i32_e32 v10, 9, v10
	s_delay_alu instid0(VALU_DEP_3) | instskip(NEXT) | instid1(VALU_DEP_3)
	v_ashrrev_i32_e32 v8, 31, v2
	v_sub_nc_u32_e32 v71, v70, v80
	s_delay_alu instid0(VALU_DEP_2) | instskip(NEXT) | instid1(VALU_DEP_2)
	v_lshrrev_b32_e32 v8, 27, v8
	v_cmp_lt_i32_e32 vcc_lo, 15, v71
	s_delay_alu instid0(VALU_DEP_2) | instskip(SKIP_1) | instid1(VALU_DEP_2)
	v_add_nc_u32_e32 v8, v2, v8
	v_add_co_ci_u32_e64 v10, s14, 0, v10, vcc_lo
	v_and_b32_e32 v11, 0xffffffe0, v8
	s_delay_alu instid0(VALU_DEP_1) | instskip(SKIP_1) | instid1(VALU_DEP_2)
	v_sub_nc_u32_e32 v81, v2, v11
	v_ashrrev_i32_e32 v11, 5, v8
	v_lshlrev_b32_e32 v2, 4, v81
	s_delay_alu instid0(VALU_DEP_2) | instskip(NEXT) | instid1(VALU_DEP_2)
	v_sub_nc_u32_e32 v128, v10, v11
	v_lshl_add_u32 v8, v11, 9, v2
	s_delay_alu instid0(VALU_DEP_1) | instskip(NEXT) | instid1(VALU_DEP_1)
	v_sub_nc_u32_e32 v2, v70, v8
	v_cmpx_lt_i32_e32 15, v2
	s_cbranch_execz .LBB2_712
; %bb.708:                              ;   in Loop: Header=BB2_568 Depth=2
	s_cbranch_execnz .LBB2_1855
; %bb.709:                              ;   in Loop: Header=BB2_568 Depth=2
	ds_load_b128 v[129:132], v0
	ds_load_b64 v[66:67], v0
	v_add_nc_u32_e32 v55, v8, v69
	s_mov_b32 s16, 0
	s_delay_alu instid0(VALU_DEP_1) | instskip(SKIP_2) | instid1(VALU_DEP_1)
	v_ashrrev_i32_e32 v68, 31, v55
	s_waitcnt lgkmcnt(1)
	v_add_co_u32 v8, s14, v129, v55
	v_add_co_ci_u32_e64 v9, s14, v130, v68, s14
	v_add_co_u32 v10, s14, v131, v55
	s_delay_alu instid0(VALU_DEP_1) | instskip(SKIP_2) | instid1(VALU_DEP_1)
	v_add_co_ci_u32_e64 v11, s14, v132, v68, s14
	s_waitcnt lgkmcnt(0)
	v_add_co_u32 v66, s14, v66, v55
	v_add_co_ci_u32_e64 v67, s14, v67, v68, s14
.LBB2_710:                              ;   Parent Loop BB2_51 Depth=1
                                        ;     Parent Loop BB2_568 Depth=2
                                        ; =>    This Inner Loop Header: Depth=3
	global_load_b128 v[129:132], v[10:11], off slc dlc
	global_load_b128 v[144:147], v[8:9], off slc dlc
	v_add_co_u32 v8, s14, v8, v103
	v_sub_nc_u32_e32 v2, v2, v96
	v_add_co_ci_u32_e64 v9, s14, v9, v112, s14
	v_add_co_u32 v10, s14, v10, v103
	s_delay_alu instid0(VALU_DEP_1) | instskip(NEXT) | instid1(VALU_DEP_4)
	v_add_co_ci_u32_e64 v11, s14, v11, v112, s14
	v_cmp_gt_i32_e64 s14, 16, v2
	v_sub_nc_u32_e32 v128, v128, v85
	s_delay_alu instid0(VALU_DEP_2)
	s_or_b32 s16, s14, s16
	s_waitcnt vmcnt(1)
	v_max_f64 v[129:130], v[129:130], v[129:130]
	s_waitcnt vmcnt(0)
	v_max_f64 v[133:134], v[144:145], v[144:145]
	v_max_f64 v[131:132], v[131:132], v[131:132]
	;; [unrolled: 1-line block ×3, first 2 shown]
	s_delay_alu instid0(VALU_DEP_3) | instskip(SKIP_1) | instid1(VALU_DEP_3)
	v_min_f64 v[146:147], v[133:134], v[129:130]
	v_max_f64 v[129:130], v[133:134], v[129:130]
	v_min_f64 v[133:134], v[144:145], v[131:132]
	v_max_f64 v[131:132], v[144:145], v[131:132]
	s_delay_alu instid0(VALU_DEP_3) | instskip(NEXT) | instid1(VALU_DEP_4)
	v_cndmask_b32_e64 v130, v147, v130, s13
	v_cndmask_b32_e64 v129, v146, v129, s13
	s_delay_alu instid0(VALU_DEP_3) | instskip(NEXT) | instid1(VALU_DEP_4)
	v_cndmask_b32_e64 v132, v134, v132, s13
	v_cndmask_b32_e64 v131, v133, v131, s13
	global_store_b128 v[66:67], v[129:132], off glc slc dlc
	v_add_co_u32 v66, s15, v66, v103
	s_delay_alu instid0(VALU_DEP_1)
	v_add_co_ci_u32_e64 v67, s15, v67, v112, s15
	s_and_not1_b32 exec_lo, exec_lo, s16
	s_cbranch_execnz .LBB2_710
; %bb.711:                              ;   in Loop: Header=BB2_568 Depth=2
	s_or_b32 exec_lo, exec_lo, s16
.LBB2_712:                              ;   in Loop: Header=BB2_568 Depth=2
	s_delay_alu instid0(SALU_CYCLE_1) | instskip(SKIP_3) | instid1(VALU_DEP_1)
	s_or_b32 exec_lo, exec_lo, s12
	v_and_b32_e32 v9, 8, v70
	s_mov_b32 s15, s5
	s_mov_b32 s12, exec_lo
                                        ; implicit-def: $vgpr55
                                        ; implicit-def: $vgpr68
                                        ; implicit-def: $vgpr8
	v_cndmask_b32_e32 v2, v71, v9, vcc_lo
	s_delay_alu instid0(VALU_DEP_1)
	v_cmpx_ne_u32_e32 0, v2
	s_cbranch_execz .LBB2_714
; %bb.713:                              ;   in Loop: Header=BB2_568 Depth=2
	v_cmp_lt_i32_e64 s14, 0, v128
	v_sub_nc_u32_e32 v9, v71, v9
	s_or_b32 s15, s5, exec_lo
	s_delay_alu instid0(VALU_DEP_2) | instskip(NEXT) | instid1(VALU_DEP_2)
	v_cndmask_b32_e64 v8, 0, v85, s14
	v_cndmask_b32_e32 v9, 0, v9, vcc_lo
	s_delay_alu instid0(VALU_DEP_2) | instskip(NEXT) | instid1(VALU_DEP_2)
	v_sub_nc_u32_e32 v8, v8, v128
	v_add3_u32 v55, v80, v69, v9
	s_delay_alu instid0(VALU_DEP_2) | instskip(NEXT) | instid1(VALU_DEP_1)
	v_lshl_add_u32 v10, v8, 5, v81
	v_ashrrev_i32_e32 v8, 31, v10
	s_delay_alu instid0(VALU_DEP_1) | instskip(NEXT) | instid1(VALU_DEP_1)
	v_lshrrev_b32_e32 v8, 27, v8
	v_add_nc_u32_e32 v8, v10, v8
	s_delay_alu instid0(VALU_DEP_1) | instskip(SKIP_1) | instid1(VALU_DEP_2)
	v_and_b32_e32 v11, 0xffffffe0, v8
	v_ashrrev_i32_e32 v8, 5, v8
	v_sub_nc_u32_e32 v68, v10, v11
.LBB2_714:                              ;   in Loop: Header=BB2_568 Depth=2
	s_or_b32 exec_lo, exec_lo, s12
	s_delay_alu instid0(SALU_CYCLE_1) | instskip(SKIP_1) | instid1(SALU_CYCLE_1)
	s_and_not1_b32 s5, s5, exec_lo
	s_and_b32 s12, s15, exec_lo
	s_or_b32 s5, s5, s12
.LBB2_715:                              ;   in Loop: Header=BB2_568 Depth=2
	s_or_b32 exec_lo, exec_lo, s10
	s_branch .LBB2_717
.LBB2_716:                              ;   in Loop: Header=BB2_568 Depth=2
	v_dual_mov_b32 v55, s14 :: v_dual_mov_b32 v68, v87
	v_mov_b32_e32 v8, v86
.LBB2_717:                              ;   in Loop: Header=BB2_568 Depth=2
	s_and_saveexec_b32 s10, s5
	s_cbranch_execz .LBB2_729
; %bb.718:                              ;   in Loop: Header=BB2_568 Depth=2
	v_ashrrev_i32_e32 v9, 31, v2
	v_lshlrev_b32_e32 v10, 3, v68
	s_mov_b32 s5, exec_lo
	s_delay_alu instid0(VALU_DEP_2) | instskip(NEXT) | instid1(VALU_DEP_1)
	v_lshrrev_b32_e32 v9, 24, v9
	v_add_nc_u32_e32 v9, v2, v9
	s_delay_alu instid0(VALU_DEP_1) | instskip(SKIP_2) | instid1(VALU_DEP_3)
	v_and_b32_e32 v69, 0xffffff00, v9
	v_ashrrev_i32_e32 v11, 8, v9
	v_lshl_add_u32 v9, v8, 8, v10
	v_sub_nc_u32_e32 v70, v2, v69
	s_delay_alu instid0(VALU_DEP_3) | instskip(NEXT) | instid1(VALU_DEP_3)
	v_sub_nc_u32_e32 v8, v11, v8
	v_sub_nc_u32_e32 v80, v2, v9
	s_delay_alu instid0(VALU_DEP_3) | instskip(NEXT) | instid1(VALU_DEP_3)
	v_cmp_lt_i32_e32 vcc_lo, 7, v70
	v_add_co_ci_u32_e64 v71, s14, 0, v8, vcc_lo
	s_delay_alu instid0(VALU_DEP_3)
	v_cmpx_lt_i32_e32 7, v80
	s_cbranch_execz .LBB2_723
; %bb.719:                              ;   in Loop: Header=BB2_568 Depth=2
	s_cbranch_execnz .LBB2_1797
; %bb.720:                              ;   in Loop: Header=BB2_568 Depth=2
	ds_load_b128 v[128:131], v0
	ds_load_b64 v[66:67], v0
	v_add_nc_u32_e32 v81, v9, v55
	s_mov_b32 s12, 0
	s_delay_alu instid0(VALU_DEP_1) | instskip(SKIP_2) | instid1(VALU_DEP_1)
	v_ashrrev_i32_e32 v132, 31, v81
	s_waitcnt lgkmcnt(1)
	v_add_co_u32 v8, s14, v128, v81
	v_add_co_ci_u32_e64 v9, s14, v129, v132, s14
	v_add_co_u32 v10, s14, v130, v81
	s_delay_alu instid0(VALU_DEP_1) | instskip(SKIP_2) | instid1(VALU_DEP_1)
	v_add_co_ci_u32_e64 v11, s14, v131, v132, s14
	s_waitcnt lgkmcnt(0)
	v_add_co_u32 v66, s14, v66, v81
	v_add_co_ci_u32_e64 v67, s14, v67, v132, s14
	s_set_inst_prefetch_distance 0x1
.LBB2_721:                              ;   Parent Loop BB2_51 Depth=1
                                        ;     Parent Loop BB2_568 Depth=2
                                        ; =>    This Inner Loop Header: Depth=3
	flat_load_b64 v[128:129], v[10:11] slc dlc
	flat_load_b64 v[130:131], v[8:9] slc dlc
	v_add_co_u32 v8, s14, v8, v114
	v_sub_nc_u32_e32 v80, v80, v98
	v_add_co_ci_u32_e64 v9, s14, v9, v115, s14
	v_add_co_u32 v10, s14, v10, v114
	s_delay_alu instid0(VALU_DEP_1) | instskip(NEXT) | instid1(VALU_DEP_4)
	v_add_co_ci_u32_e64 v11, s14, v11, v115, s14
	v_cmp_gt_i32_e64 s14, 8, v80
	v_sub_nc_u32_e32 v71, v71, v85
	s_delay_alu instid0(VALU_DEP_2) | instskip(SKIP_4) | instid1(VALU_DEP_1)
	s_or_b32 s12, s14, s12
	s_waitcnt vmcnt(1) lgkmcnt(1)
	v_max_f64 v[128:129], v[128:129], v[128:129]
	s_waitcnt vmcnt(0) lgkmcnt(0)
	v_max_f64 v[130:131], v[130:131], v[130:131]
	v_min_f64 v[132:133], v[130:131], v[128:129]
	v_max_f64 v[128:129], v[130:131], v[128:129]
	s_delay_alu instid0(VALU_DEP_1) | instskip(NEXT) | instid1(VALU_DEP_2)
	v_cndmask_b32_e64 v129, v133, v129, s13
	v_cndmask_b32_e64 v128, v132, v128, s13
	flat_store_b64 v[66:67], v[128:129] glc slc dlc
	v_add_co_u32 v66, s15, v66, v114
	s_delay_alu instid0(VALU_DEP_1)
	v_add_co_ci_u32_e64 v67, s15, v67, v115, s15
	s_and_not1_b32 exec_lo, exec_lo, s12
	s_cbranch_execnz .LBB2_721
; %bb.722:                              ;   in Loop: Header=BB2_568 Depth=2
	s_set_inst_prefetch_distance 0x2
	s_or_b32 exec_lo, exec_lo, s12
.LBB2_723:                              ;   in Loop: Header=BB2_568 Depth=2
	s_delay_alu instid0(SALU_CYCLE_1) | instskip(SKIP_2) | instid1(VALU_DEP_1)
	s_or_b32 exec_lo, exec_lo, s5
	v_and_b32_e32 v8, 7, v2
	s_mov_b32 s5, exec_lo
	v_cndmask_b32_e32 v2, v70, v8, vcc_lo
	s_delay_alu instid0(VALU_DEP_1)
	v_cmpx_ne_u32_e32 0, v2
	s_cbranch_execz .LBB2_728
; %bb.724:                              ;   in Loop: Header=BB2_568 Depth=2
	v_cmp_lt_i32_e64 s14, 0, v71
	s_delay_alu instid0(VALU_DEP_1) | instskip(NEXT) | instid1(VALU_DEP_1)
	v_cndmask_b32_e64 v9, 0, v85, s14
	v_sub_nc_u32_e32 v9, v9, v71
	s_delay_alu instid0(VALU_DEP_1) | instskip(NEXT) | instid1(VALU_DEP_1)
	v_lshl_add_u32 v9, v9, 5, v68
	v_ashrrev_i32_e32 v10, 31, v9
	s_delay_alu instid0(VALU_DEP_1) | instskip(NEXT) | instid1(VALU_DEP_1)
	v_lshrrev_b32_e32 v10, 27, v10
	v_add_nc_u32_e32 v10, v9, v10
	s_delay_alu instid0(VALU_DEP_1) | instskip(SKIP_1) | instid1(VALU_DEP_2)
	v_and_b32_e32 v11, 0x1fffffe0, v10
	v_lshlrev_b32_e32 v10, 3, v10
	v_sub_nc_u32_e32 v9, v9, v11
	s_delay_alu instid0(VALU_DEP_2) | instskip(NEXT) | instid1(VALU_DEP_1)
	v_and_b32_e32 v10, 0xffffff00, v10
	v_lshl_add_u32 v9, v9, 3, v10
	s_delay_alu instid0(VALU_DEP_1) | instskip(NEXT) | instid1(VALU_DEP_1)
	v_sub_nc_u32_e32 v2, v2, v9
	v_cmp_lt_i32_e64 s14, 7, v2
	s_delay_alu instid0(VALU_DEP_1)
	s_and_b32 exec_lo, exec_lo, s14
	s_cbranch_execz .LBB2_728
; %bb.725:                              ;   in Loop: Header=BB2_568 Depth=2
	s_cbranch_execnz .LBB2_1863
; %bb.726:                              ;   in Loop: Header=BB2_568 Depth=2
	ds_load_b128 v[128:131], v0
	ds_load_b64 v[66:67], v0
	v_sub_nc_u32_e32 v8, v70, v8
	v_add_nc_u32_e32 v10, v69, v55
	s_mov_b32 s12, 0
	s_delay_alu instid0(VALU_DEP_2) | instskip(NEXT) | instid1(VALU_DEP_1)
	v_cndmask_b32_e32 v8, 0, v8, vcc_lo
	v_add3_u32 v55, v10, v8, v9
	s_delay_alu instid0(VALU_DEP_1) | instskip(SKIP_2) | instid1(VALU_DEP_2)
	v_ashrrev_i32_e32 v68, 31, v55
	s_waitcnt lgkmcnt(1)
	v_add_co_u32 v8, vcc_lo, v128, v55
	v_add_co_ci_u32_e32 v9, vcc_lo, v129, v68, vcc_lo
	v_add_co_u32 v10, vcc_lo, v130, v55
	v_add_co_ci_u32_e32 v11, vcc_lo, v131, v68, vcc_lo
	s_waitcnt lgkmcnt(0)
	v_add_co_u32 v66, vcc_lo, v66, v55
	v_add_co_ci_u32_e32 v67, vcc_lo, v67, v68, vcc_lo
	s_set_inst_prefetch_distance 0x1
.LBB2_727:                              ;   Parent Loop BB2_51 Depth=1
                                        ;     Parent Loop BB2_568 Depth=2
                                        ; =>    This Inner Loop Header: Depth=3
	flat_load_b64 v[68:69], v[10:11] slc dlc
	flat_load_b64 v[70:71], v[8:9] slc dlc
	v_add_co_u32 v8, vcc_lo, v8, v114
	v_sub_nc_u32_e32 v2, v2, v98
	v_add_co_ci_u32_e32 v9, vcc_lo, v9, v115, vcc_lo
	v_add_co_u32 v10, vcc_lo, v10, v114
	v_add_co_ci_u32_e32 v11, vcc_lo, v11, v115, vcc_lo
	s_delay_alu instid0(VALU_DEP_4)
	v_cmp_gt_i32_e32 vcc_lo, 8, v2
	s_or_b32 s12, vcc_lo, s12
	s_waitcnt vmcnt(1) lgkmcnt(1)
	v_max_f64 v[68:69], v[68:69], v[68:69]
	s_waitcnt vmcnt(0) lgkmcnt(0)
	v_max_f64 v[70:71], v[70:71], v[70:71]
	s_delay_alu instid0(VALU_DEP_1) | instskip(SKIP_1) | instid1(VALU_DEP_1)
	v_min_f64 v[80:81], v[70:71], v[68:69]
	v_max_f64 v[68:69], v[70:71], v[68:69]
	v_cndmask_b32_e64 v69, v81, v69, s13
	s_delay_alu instid0(VALU_DEP_2) | instskip(SKIP_2) | instid1(VALU_DEP_1)
	v_cndmask_b32_e64 v68, v80, v68, s13
	flat_store_b64 v[66:67], v[68:69] glc slc dlc
	v_add_co_u32 v66, s14, v66, v114
	v_add_co_ci_u32_e64 v67, s14, v67, v115, s14
	s_and_not1_b32 exec_lo, exec_lo, s12
	s_cbranch_execnz .LBB2_727
.LBB2_728:                              ;   in Loop: Header=BB2_568 Depth=2
	s_set_inst_prefetch_distance 0x2
	s_or_b32 exec_lo, exec_lo, s5
.LBB2_729:                              ;   in Loop: Header=BB2_568 Depth=2
	s_delay_alu instid0(SALU_CYCLE_1)
	s_or_b32 exec_lo, exec_lo, s10
.LBB2_730:                              ;   in Loop: Header=BB2_568 Depth=2
	s_and_saveexec_b32 s5, s3
	s_cbranch_execz .LBB2_752
; %bb.731:                              ;   in Loop: Header=BB2_568 Depth=2
	s_and_saveexec_b32 s10, s4
	s_delay_alu instid0(SALU_CYCLE_1)
	s_xor_b32 s10, exec_lo, s10
	s_cbranch_execz .LBB2_749
; %bb.732:                              ;   in Loop: Header=BB2_568 Depth=2
	s_and_saveexec_b32 s12, s1
	s_cbranch_execz .LBB2_748
; %bb.733:                              ;   in Loop: Header=BB2_568 Depth=2
	s_mov_b32 s14, exec_lo
	s_mov_b32 s13, exec_lo
	v_mbcnt_lo_u32_b32 v2, s14, 0
	s_waitcnt lgkmcnt(0)
	s_waitcnt_vscnt null, 0x0
	buffer_gl1_inv
	buffer_gl0_inv
	v_cmpx_eq_u32_e32 0, v2
	s_cbranch_execz .LBB2_735
; %bb.734:                              ;   in Loop: Header=BB2_568 Depth=2
	s_bcnt1_i32_b32 s14, s14
	s_delay_alu instid0(SALU_CYCLE_1)
	v_mov_b32_e32 v2, s14
	ds_add_u64 v0, v[2:3]
	s_cbranch_execnz .LBB2_1761
.LBB2_735:                              ;   in Loop: Header=BB2_568 Depth=2
	s_or_b32 exec_lo, exec_lo, s13
	s_cbranch_execnz .LBB2_1735
; %bb.736:                              ;   in Loop: Header=BB2_568 Depth=2
	ds_load_b64 v[8:9], v0
	v_add_co_u32 v12, vcc_lo, v12, v85
	v_add_co_ci_u32_e32 v13, vcc_lo, 0, v13, vcc_lo
	s_mov_b32 s13, exec_lo
	s_waitcnt lgkmcnt(0)
	s_delay_alu instid0(VALU_DEP_1)
	v_cmpx_lt_u64_e64 v[8:9], v[12:13]
	s_cbranch_execz .LBB2_747
; %bb.737:                              ;   in Loop: Header=BB2_568 Depth=2
	s_mov_b32 s14, 0
	s_mov_b32 s17, 0
                                        ; implicit-def: $sgpr15
                                        ; implicit-def: $sgpr16
	s_branch .LBB2_739
.LBB2_738:                              ;   in Loop: Header=BB2_739 Depth=3
	s_or_b32 exec_lo, exec_lo, s34
	s_delay_alu instid0(SALU_CYCLE_1) | instskip(NEXT) | instid1(SALU_CYCLE_1)
	s_and_b32 s20, exec_lo, s28
	s_or_b32 s14, s20, s14
	s_and_not1_b32 s15, s15, exec_lo
	s_and_b32 s20, s16, exec_lo
	s_delay_alu instid0(SALU_CYCLE_1)
	s_or_b32 s15, s15, s20
	s_and_not1_b32 exec_lo, exec_lo, s14
	s_cbranch_execz .LBB2_745
.LBB2_739:                              ;   Parent Loop BB2_51 Depth=1
                                        ;     Parent Loop BB2_568 Depth=2
                                        ; =>    This Inner Loop Header: Depth=3
	s_add_i32 s17, s17, 1
                                        ; implicit-def: $sgpr28
	s_delay_alu instid0(SALU_CYCLE_1) | instskip(SKIP_1) | instid1(SALU_CYCLE_1)
	s_cmpk_lg_i32 s17, 0x2710
	s_cselect_b32 s20, -1, 0
	s_and_b32 vcc_lo, exec_lo, s20
	s_cbranch_vccz .LBB2_743
.LBB2_740:                              ;   in Loop: Header=BB2_739 Depth=3
	s_and_not1_b32 s16, s16, exec_lo
	s_and_b32 vcc_lo, s28, exec_lo
	s_mov_b32 s28, -1
	s_or_b32 s16, s16, vcc_lo
	s_and_saveexec_b32 s34, s20
	s_cbranch_execz .LBB2_738
; %bb.741:                              ;   in Loop: Header=BB2_739 Depth=3
	s_sleep 1
	s_cbranch_execnz .LBB2_1817
; %bb.742:                              ;   in Loop: Header=BB2_739 Depth=3
	ds_load_b64 v[8:9], v0
	s_and_not1_b32 s16, s16, exec_lo
	s_waitcnt lgkmcnt(0)
	v_cmp_ge_u64_e32 vcc_lo, v[8:9], v[12:13]
	s_or_not1_b32 s28, vcc_lo, exec_lo
	s_branch .LBB2_738
.LBB2_743:                              ;   in Loop: Header=BB2_739 Depth=3
	s_cbranch_execnz .LBB2_1837
; %bb.744:                              ;   in Loop: Header=BB2_739 Depth=3
	ds_load_b64 v[8:9], v0
	s_and_not1_b32 s20, s20, exec_lo
	s_mov_b32 s17, 0
	s_mov_b32 s28, -1
	s_waitcnt lgkmcnt(0)
	flat_load_b32 v2, v[8:9] glc
	s_waitcnt vmcnt(0) lgkmcnt(0)
	buffer_gl1_inv
	buffer_gl0_inv
	v_cmp_eq_u32_e32 vcc_lo, 0, v2
	s_and_b32 vcc_lo, vcc_lo, exec_lo
	s_delay_alu instid0(SALU_CYCLE_1)
	s_or_b32 s20, s20, vcc_lo
	s_branch .LBB2_740
.LBB2_745:                              ;   in Loop: Header=BB2_568 Depth=2
	s_or_b32 exec_lo, exec_lo, s14
	s_and_saveexec_b32 s14, s15
	s_delay_alu instid0(SALU_CYCLE_1)
	s_xor_b32 s14, exec_lo, s14
	s_cbranch_execz .LBB2_747
; %bb.746:                              ;   in Loop: Header=BB2_568 Depth=2
	ds_store_b32 v0, v118
	s_cbranch_execnz .LBB2_1941
.LBB2_747:                              ;   in Loop: Header=BB2_568 Depth=2
	s_or_b32 exec_lo, exec_lo, s13
	;;#ASMSTART
	s_wakeup
	;;#ASMEND
.LBB2_748:                              ;   in Loop: Header=BB2_568 Depth=2
	s_or_b32 exec_lo, exec_lo, s12
.LBB2_749:                              ;   in Loop: Header=BB2_568 Depth=2
	s_and_not1_saveexec_b32 s10, s10
	s_cbranch_execz .LBB2_751
; %bb.750:                              ;   in Loop: Header=BB2_568 Depth=2
	s_waitcnt lgkmcnt(0)
	s_waitcnt_vscnt null, 0x0
	buffer_gl1_inv
	buffer_gl0_inv
	s_barrier
.LBB2_751:                              ;   in Loop: Header=BB2_568 Depth=2
	s_or_b32 exec_lo, exec_lo, s10
.LBB2_752:                              ;   in Loop: Header=BB2_568 Depth=2
	s_delay_alu instid0(SALU_CYCLE_1) | instskip(SKIP_1) | instid1(SALU_CYCLE_1)
	s_or_b32 exec_lo, exec_lo, s5
                                        ; implicit-def: $vgpr2
	s_and_saveexec_b32 s5, s7
	s_xor_b32 s5, exec_lo, s5
	s_cbranch_execz .LBB2_756
; %bb.753:                              ;   in Loop: Header=BB2_568 Depth=2
	v_and_b32_e32 v2, 16, v30
	v_cmp_lt_i32_e32 vcc_lo, 0, v53
	s_delay_alu instid0(VALU_DEP_2) | instskip(SKIP_1) | instid1(VALU_DEP_2)
	v_cmp_ne_u32_e64 s13, 0, v2
	v_and_b32_e32 v2, 16, v30
	s_and_b32 s12, s13, vcc_lo
	s_delay_alu instid0(SALU_CYCLE_1)
	s_and_saveexec_b32 s10, s12
	s_cbranch_execz .LBB2_755
; %bb.754:                              ;   in Loop: Header=BB2_568 Depth=2
	v_mov_b32_e32 v2, 1
	s_waitcnt lgkmcnt(0)
	s_waitcnt_vscnt null, 0x0
	buffer_gl1_inv
	buffer_gl0_inv
.LBB2_755:                              ;   in Loop: Header=BB2_568 Depth=2
	s_or_b32 exec_lo, exec_lo, s10
.LBB2_756:                              ;   in Loop: Header=BB2_568 Depth=2
	s_and_not1_saveexec_b32 s5, s5
	s_cbranch_execz .LBB2_778
; %bb.757:                              ;   in Loop: Header=BB2_568 Depth=2
	s_and_saveexec_b32 s10, s4
	s_delay_alu instid0(SALU_CYCLE_1)
	s_xor_b32 s10, exec_lo, s10
	s_cbranch_execz .LBB2_775
; %bb.758:                              ;   in Loop: Header=BB2_568 Depth=2
	s_and_saveexec_b32 s12, s1
	s_cbranch_execz .LBB2_774
; %bb.759:                              ;   in Loop: Header=BB2_568 Depth=2
	s_mov_b32 s14, exec_lo
	s_mov_b32 s13, exec_lo
	v_mbcnt_lo_u32_b32 v2, s14, 0
	;;#ASMSTART
	s_waitcnt lgkmcnt(0) vmcnt(0)
	;;#ASMEND
	s_delay_alu instid0(VALU_DEP_1)
	v_cmpx_eq_u32_e32 0, v2
	s_cbranch_execz .LBB2_761
; %bb.760:                              ;   in Loop: Header=BB2_568 Depth=2
	s_bcnt1_i32_b32 s14, s14
	s_delay_alu instid0(SALU_CYCLE_1)
	v_mov_b32_e32 v2, s14
	ds_add_u64 v0, v[2:3]
	s_cbranch_execnz .LBB2_1765
.LBB2_761:                              ;   in Loop: Header=BB2_568 Depth=2
	s_or_b32 exec_lo, exec_lo, s13
	s_cbranch_execnz .LBB2_1739
; %bb.762:                              ;   in Loop: Header=BB2_568 Depth=2
	ds_load_b64 v[8:9], v0
	v_add_co_u32 v12, vcc_lo, v12, v85
	v_add_co_ci_u32_e32 v13, vcc_lo, 0, v13, vcc_lo
	s_mov_b32 s13, exec_lo
	s_waitcnt lgkmcnt(0)
	s_delay_alu instid0(VALU_DEP_1)
	v_cmpx_lt_u64_e64 v[8:9], v[12:13]
	s_cbranch_execz .LBB2_773
; %bb.763:                              ;   in Loop: Header=BB2_568 Depth=2
	s_mov_b32 s14, 0
	s_mov_b32 s17, 0
                                        ; implicit-def: $sgpr15
                                        ; implicit-def: $sgpr16
	s_branch .LBB2_765
.LBB2_764:                              ;   in Loop: Header=BB2_765 Depth=3
	s_or_b32 exec_lo, exec_lo, s34
	s_delay_alu instid0(SALU_CYCLE_1) | instskip(NEXT) | instid1(SALU_CYCLE_1)
	s_and_b32 s20, exec_lo, s28
	s_or_b32 s14, s20, s14
	s_and_not1_b32 s15, s15, exec_lo
	s_and_b32 s20, s16, exec_lo
	s_delay_alu instid0(SALU_CYCLE_1)
	s_or_b32 s15, s15, s20
	s_and_not1_b32 exec_lo, exec_lo, s14
	s_cbranch_execz .LBB2_771
.LBB2_765:                              ;   Parent Loop BB2_51 Depth=1
                                        ;     Parent Loop BB2_568 Depth=2
                                        ; =>    This Inner Loop Header: Depth=3
	s_add_i32 s17, s17, 1
                                        ; implicit-def: $sgpr28
	s_delay_alu instid0(SALU_CYCLE_1) | instskip(SKIP_1) | instid1(SALU_CYCLE_1)
	s_cmpk_lg_i32 s17, 0x2710
	s_cselect_b32 s20, -1, 0
	s_and_b32 vcc_lo, exec_lo, s20
	s_cbranch_vccz .LBB2_769
.LBB2_766:                              ;   in Loop: Header=BB2_765 Depth=3
	s_and_not1_b32 s16, s16, exec_lo
	s_and_b32 vcc_lo, s28, exec_lo
	s_mov_b32 s28, -1
	s_or_b32 s16, s16, vcc_lo
	s_and_saveexec_b32 s34, s20
	s_cbranch_execz .LBB2_764
; %bb.767:                              ;   in Loop: Header=BB2_765 Depth=3
	s_sleep 1
	s_cbranch_execnz .LBB2_1825
; %bb.768:                              ;   in Loop: Header=BB2_765 Depth=3
	ds_load_b64 v[8:9], v0
	s_and_not1_b32 s16, s16, exec_lo
	s_waitcnt lgkmcnt(0)
	v_cmp_ge_u64_e32 vcc_lo, v[8:9], v[12:13]
	s_or_not1_b32 s28, vcc_lo, exec_lo
	s_branch .LBB2_764
.LBB2_769:                              ;   in Loop: Header=BB2_765 Depth=3
	s_cbranch_execnz .LBB2_1843
; %bb.770:                              ;   in Loop: Header=BB2_765 Depth=3
	ds_load_b64 v[8:9], v0
	s_and_not1_b32 s20, s20, exec_lo
	s_mov_b32 s17, 0
	s_mov_b32 s28, -1
	s_waitcnt lgkmcnt(0)
	s_waitcnt_vscnt null, 0x0
	flat_load_b32 v2, v[8:9] glc
	s_waitcnt vmcnt(0) lgkmcnt(0)
	buffer_gl1_inv
	buffer_gl0_inv
	v_cmp_eq_u32_e32 vcc_lo, 0, v2
	s_and_b32 vcc_lo, vcc_lo, exec_lo
	s_delay_alu instid0(SALU_CYCLE_1)
	s_or_b32 s20, s20, vcc_lo
	s_branch .LBB2_766
.LBB2_771:                              ;   in Loop: Header=BB2_568 Depth=2
	s_or_b32 exec_lo, exec_lo, s14
	s_and_saveexec_b32 s14, s15
	s_delay_alu instid0(SALU_CYCLE_1)
	s_xor_b32 s14, exec_lo, s14
	s_cbranch_execz .LBB2_773
; %bb.772:                              ;   in Loop: Header=BB2_568 Depth=2
	ds_store_b32 v0, v118
	s_cbranch_execnz .LBB2_1943
.LBB2_773:                              ;   in Loop: Header=BB2_568 Depth=2
	s_or_b32 exec_lo, exec_lo, s13
	;;#ASMSTART
	s_wakeup
	;;#ASMEND
.LBB2_774:                              ;   in Loop: Header=BB2_568 Depth=2
	s_or_b32 exec_lo, exec_lo, s12
.LBB2_775:                              ;   in Loop: Header=BB2_568 Depth=2
	s_and_not1_saveexec_b32 s10, s10
	s_cbranch_execz .LBB2_777
; %bb.776:                              ;   in Loop: Header=BB2_568 Depth=2
	;;#ASMSTART
	s_waitcnt lgkmcnt(0) vmcnt(0)
	;;#ASMEND
	s_waitcnt lgkmcnt(0)
	s_waitcnt_vscnt null, 0x0
	s_barrier
.LBB2_777:                              ;   in Loop: Header=BB2_568 Depth=2
	s_or_b32 exec_lo, exec_lo, s10
	v_and_b32_e32 v2, 16, v30
.LBB2_778:                              ;   in Loop: Header=BB2_568 Depth=2
	s_or_b32 exec_lo, exec_lo, s5
	s_delay_alu instid0(VALU_DEP_1) | instskip(SKIP_1) | instid1(SALU_CYCLE_1)
	v_cmp_ne_u32_e32 vcc_lo, 0, v2
	s_xor_b32 s5, s6, -1
	s_and_b32 s10, vcc_lo, s5
	s_delay_alu instid0(SALU_CYCLE_1)
	s_and_saveexec_b32 s5, s10
	s_cbranch_execz .LBB2_780
; %bb.779:                              ;   in Loop: Header=BB2_568 Depth=2
	s_waitcnt lgkmcnt(0)
	s_waitcnt_vscnt null, 0x0
	flat_store_b32 v[26:27], v118
.LBB2_780:                              ;   in Loop: Header=BB2_568 Depth=2
	s_or_b32 exec_lo, exec_lo, s5
	v_and_b32_e32 v2, 48, v30
	s_mov_b32 s5, exec_lo
	s_delay_alu instid0(VALU_DEP_1)
	v_cmpx_ne_u32_e32 0, v2
	s_cbranch_execz .LBB2_782
; %bb.781:                              ;   in Loop: Header=BB2_568 Depth=2
	v_add_co_u32 v22, vcc_lo, v22, 2
	v_add_co_ci_u32_e32 v23, vcc_lo, 0, v23, vcc_lo
	s_waitcnt lgkmcnt(0)
	s_waitcnt_vscnt null, 0x0
	flat_store_b64 v[20:21], v[22:23]
.LBB2_782:                              ;   in Loop: Header=BB2_568 Depth=2
	s_or_b32 exec_lo, exec_lo, s5
	v_add_nc_u32_e32 v54, v52, v54
	s_xor_b32 s5, s31, -1
	v_readlane_b32 s16, v42, 6
	v_mov_b32_e32 v2, s30
	v_readlane_b32 s14, v42, 7
	v_cmp_ge_i32_e32 vcc_lo, v54, v119
	v_readlane_b32 s35, v42, 8
	v_readlane_b32 s31, v42, 9
	;; [unrolled: 1-line block ×4, first 2 shown]
	s_or_b32 s5, s5, vcc_lo
	s_mov_b32 s36, 0
	s_and_b32 s5, exec_lo, s5
	s_mov_b32 s30, 2
	s_or_b32 s16, s5, s16
	s_delay_alu instid0(SALU_CYCLE_1)
	s_and_not1_b32 exec_lo, exec_lo, s16
	s_cbranch_execnz .LBB2_568
; %bb.783:                              ;   in Loop: Header=BB2_51 Depth=1
	s_or_b32 exec_lo, exec_lo, s16
	v_readlane_b32 s5, v42, 5
.LBB2_784:                              ;   in Loop: Header=BB2_51 Depth=1
	s_delay_alu instid0(VALU_DEP_1) | instskip(NEXT) | instid1(SALU_CYCLE_1)
	s_or_b32 exec_lo, exec_lo, s5
	s_mov_b32 s10, exec_lo
	v_cmpx_gt_i32_e32 2, v2
	s_cbranch_execz .LBB2_870
; %bb.785:                              ;   in Loop: Header=BB2_51 Depth=1
	v_cmp_eq_u32_e64 s5, 0, v2
	s_mov_b32 s12, s13
	s_mov_b32 s15, s34
	;; [unrolled: 1-line block ×4, first 2 shown]
.LBB2_786:                              ;   Parent Loop BB2_51 Depth=1
                                        ; =>  This Loop Header: Depth=2
                                        ;       Child Loop BB2_792 Depth 3
                                        ;       Child Loop BB2_824 Depth 3
	;; [unrolled: 1-line block ×3, first 2 shown]
	v_and_b32_e32 v2, 12, v30
	s_mov_b32 s20, -1
	s_mov_b32 s13, exec_lo
	s_delay_alu instid0(VALU_DEP_1)
	v_cmpx_ne_u32_e32 0, v2
	s_cbranch_execz .LBB2_800
; %bb.787:                              ;   in Loop: Header=BB2_786 Depth=2
	v_and_b32_e32 v2, 8, v30
	s_delay_alu instid0(VALU_DEP_1) | instskip(SKIP_3) | instid1(VALU_DEP_1)
	v_add_co_u32 v10, vcc_lo, v28, v2
	v_add_co_ci_u32_e32 v11, vcc_lo, 0, v29, vcc_lo
	v_add_co_u32 v8, vcc_lo, v22, 2
	v_add_co_ci_u32_e32 v9, vcc_lo, 0, v23, vcc_lo
	v_cmp_lt_u64_e32 vcc_lo, v[10:11], v[8:9]
	v_mov_b32_e32 v10, 1
	s_and_saveexec_b32 s20, vcc_lo
	s_cbranch_execz .LBB2_799
; %bb.788:                              ;   in Loop: Header=BB2_786 Depth=2
	v_mov_b32_e32 v10, 0
	s_mov_b32 s28, 0
                                        ; implicit-def: $sgpr30
	s_branch .LBB2_792
.LBB2_789:                              ;   in Loop: Header=BB2_792 Depth=3
	s_or_b32 exec_lo, exec_lo, s37
	v_mov_b32_e32 v11, 0
	s_or_not1_b32 s36, s36, exec_lo
.LBB2_790:                              ;   in Loop: Header=BB2_792 Depth=3
	s_or_b32 exec_lo, exec_lo, s34
	s_delay_alu instid0(VALU_DEP_1) | instskip(SKIP_2) | instid1(SALU_CYCLE_1)
	v_mov_b32_e32 v10, v11
	s_and_not1_b32 vcc_lo, s30, exec_lo
	s_and_b32 s30, s36, exec_lo
	s_or_b32 s30, vcc_lo, s30
.LBB2_791:                              ;   in Loop: Header=BB2_792 Depth=3
	s_or_b32 exec_lo, exec_lo, s31
	s_waitcnt vmcnt(0) lgkmcnt(0)
	v_add_co_u32 v64, vcc_lo, v28, v2
	v_add_co_ci_u32_e32 v65, vcc_lo, 0, v29, vcc_lo
	s_xor_b32 s31, s30, -1
	s_delay_alu instid0(VALU_DEP_1) | instskip(SKIP_1) | instid1(SALU_CYCLE_1)
	v_cmp_ge_u64_e32 vcc_lo, v[64:65], v[8:9]
	s_or_b32 vcc_lo, s31, vcc_lo
	s_and_b32 vcc_lo, exec_lo, vcc_lo
	s_delay_alu instid0(SALU_CYCLE_1) | instskip(NEXT) | instid1(SALU_CYCLE_1)
	s_or_b32 s28, vcc_lo, s28
	s_and_not1_b32 exec_lo, exec_lo, s28
	s_cbranch_execz .LBB2_798
.LBB2_792:                              ;   Parent Loop BB2_51 Depth=1
                                        ;     Parent Loop BB2_786 Depth=2
                                        ; =>    This Inner Loop Header: Depth=3
	s_sleep 1
	flat_load_b64 v[28:29], v[20:21] glc
	v_and_b32_e32 v11, 64, v30
	s_and_not1_b32 s30, s30, exec_lo
	s_mov_b32 s31, exec_lo
	s_delay_alu instid0(VALU_DEP_1)
	v_cmpx_eq_u32_e32 0, v11
	s_cbranch_execz .LBB2_791
; %bb.793:                              ;   in Loop: Header=BB2_792 Depth=3
	v_add_nc_u32_e32 v11, 1, v10
	s_mov_b32 s36, -1
	s_mov_b32 s34, exec_lo
	v_cmpx_lt_i32_e32 0x270e, v10
	s_cbranch_execz .LBB2_790
; %bb.794:                              ;   in Loop: Header=BB2_792 Depth=3
	s_cbranch_execnz .LBB2_1537
; %bb.795:                              ;   in Loop: Header=BB2_792 Depth=3
	ds_load_b64 v[10:11], v0
	s_mov_b32 s37, exec_lo
	s_waitcnt vmcnt(0) lgkmcnt(0)
	s_waitcnt_vscnt null, 0x0
	flat_load_b32 v10, v[10:11] glc
	s_waitcnt vmcnt(0) lgkmcnt(0)
	buffer_gl1_inv
	buffer_gl0_inv
	v_cmpx_ne_u32_e32 0, v10
	s_cbranch_execz .LBB2_789
; %bb.796:                              ;   in Loop: Header=BB2_792 Depth=3
	ds_store_b32 v0, v10
	s_cbranch_execnz .LBB2_1591
; %bb.797:                              ;   in Loop: Header=BB2_792 Depth=3
	v_or_b32_e32 v30, 64, v30
	s_xor_b32 s36, exec_lo, -1
	s_branch .LBB2_789
.LBB2_798:                              ;   in Loop: Header=BB2_786 Depth=2
	s_or_b32 exec_lo, exec_lo, s28
	v_and_b32_e32 v10, 12, v30
.LBB2_799:                              ;   in Loop: Header=BB2_786 Depth=2
	s_or_b32 exec_lo, exec_lo, s20
	s_delay_alu instid0(VALU_DEP_1)
	v_cmp_eq_u32_e32 vcc_lo, 0, v10
	;;#ASMSTART
	s_wakeup
	;;#ASMEND
	s_or_not1_b32 s20, vcc_lo, exec_lo
.LBB2_800:                              ;   in Loop: Header=BB2_786 Depth=2
	s_or_b32 exec_lo, exec_lo, s13
	v_sub_nc_u32_e32 v2, v119, v54
	s_xor_b32 s5, s5, -1
	s_delay_alu instid0(SALU_CYCLE_1) | instskip(NEXT) | instid1(SALU_CYCLE_1)
	s_and_b32 s5, exec_lo, s5
	s_or_b32 s17, s5, s17
	s_delay_alu instid0(VALU_DEP_1) | instskip(SKIP_1) | instid1(SALU_CYCLE_1)
	v_min_i32_e32 v52, v52, v2
	s_xor_b32 s13, s20, -1
	s_and_saveexec_b32 s5, s13
	s_cbranch_execz .LBB2_815
; %bb.801:                              ;   in Loop: Header=BB2_786 Depth=2
	v_and_b32_e32 v2, 0x108, v30
	s_mov_b32 s13, exec_lo
	s_delay_alu instid0(VALU_DEP_1)
	v_cmpx_ne_u32_e32 0x108, v2
	s_xor_b32 s13, exec_lo, s13
                                        ; implicit-def: $vgpr8_vgpr9
; %bb.802:                              ;   in Loop: Header=BB2_786 Depth=2
	v_and_b32_e32 v8, 7, v22
; %bb.803:                              ;   in Loop: Header=BB2_786 Depth=2
	s_and_not1_saveexec_b32 s13, s13
	s_cbranch_execz .LBB2_805
; %bb.804:                              ;   in Loop: Header=BB2_786 Depth=2
	v_and_b32_e32 v8, 7, v22
	v_ashrrev_i32_e32 v53, 31, v52
	s_delay_alu instid0(VALU_DEP_2) | instskip(NEXT) | instid1(VALU_DEP_2)
	v_mad_u64_u32 v[9:10], null, v8, 24, v[6:7]
	v_lshlrev_b64 v[64:65], 3, v[52:53]
	flat_store_b64 v[9:10], v[64:65] offset:8
.LBB2_805:                              ;   in Loop: Header=BB2_786 Depth=2
	s_or_b32 exec_lo, exec_lo, s13
	v_and_b32_e32 v2, 0x100, v30
	s_mov_b32 s13, -1
	s_mov_b32 s20, exec_lo
                                        ; implicit-def: $vgpr9_vgpr10
	s_delay_alu instid0(VALU_DEP_1)
	v_cmpx_ne_u32_e32 0, v2
	s_cbranch_execnz .LBB2_808
; %bb.806:                              ;   in Loop: Header=BB2_786 Depth=2
	s_or_b32 exec_lo, exec_lo, s20
	s_and_saveexec_b32 s20, s13
	s_cbranch_execnz .LBB2_811
.LBB2_807:                              ;   in Loop: Header=BB2_786 Depth=2
	s_or_b32 exec_lo, exec_lo, s20
	s_cbranch_execnz .LBB2_1533
	s_branch .LBB2_812
.LBB2_808:                              ;   in Loop: Header=BB2_786 Depth=2
	v_mad_u64_u32 v[64:65], null, v8, 24, v[6:7]
	s_mov_b32 s28, exec_lo
	s_delay_alu instid0(VALU_DEP_1) | instskip(NEXT) | instid1(VALU_DEP_1)
	v_mov_b32_e32 v2, v65
	v_mad_u64_u32 v[9:10], null, v3, 24, v[2:3]
	s_delay_alu instid0(VALU_DEP_1)
	v_mov_b32_e32 v65, v9
                                        ; implicit-def: $vgpr9_vgpr10
	flat_load_b32 v2, v[64:65]
	s_waitcnt vmcnt(0) lgkmcnt(0)
	v_cmp_ne_u32_e32 vcc_lo, 1, v2
	v_cmpx_eq_u32_e32 1, v2
	s_cbranch_execz .LBB2_810
; %bb.809:                              ;   in Loop: Header=BB2_786 Depth=2
	flat_load_b32 v9, v[64:65] offset:4 glc
	s_waitcnt vmcnt(0) lgkmcnt(0)
	v_ashrrev_i32_e32 v10, 31, v9
	s_delay_alu instid0(VALU_DEP_1)
	v_lshrrev_b64 v[9:10], 3, v[9:10]
.LBB2_810:                              ;   in Loop: Header=BB2_786 Depth=2
	s_or_b32 exec_lo, exec_lo, s28
	s_delay_alu instid0(SALU_CYCLE_1)
	s_or_not1_b32 s13, vcc_lo, exec_lo
	s_or_b32 exec_lo, exec_lo, s20
	s_and_saveexec_b32 s20, s13
	s_cbranch_execz .LBB2_807
.LBB2_811:                              ;   in Loop: Header=BB2_786 Depth=2
	v_mul_lo_u32 v2, v3, v83
	v_mul_lo_u32 v11, v8, v84
	v_mad_u64_u32 v[9:10], null, v8, v83, 0
	s_delay_alu instid0(VALU_DEP_1)
	v_add3_u32 v10, v10, v11, v2
	s_or_b32 exec_lo, exec_lo, s20
	s_cbranch_execnz .LBB2_1533
.LBB2_812:                              ;   in Loop: Header=BB2_786 Depth=2
	s_delay_alu instid0(VALU_DEP_1) | instskip(SKIP_2) | instid1(VALU_DEP_2)
	v_lshlrev_b64 v[8:9], 3, v[9:10]
	v_and_b32_e32 v2, 0x2000, v30
	s_mov_b32 s13, exec_lo
	v_add_co_u32 v8, vcc_lo, v24, v8
	s_delay_alu instid0(VALU_DEP_3)
	v_add_co_ci_u32_e32 v9, vcc_lo, v25, v9, vcc_lo
	ds_store_b64 v0, v[8:9]
	v_cmpx_ne_u32_e32 0, v2
	s_cbranch_execz .LBB2_814
; %bb.813:                              ;   in Loop: Header=BB2_786 Depth=2
	ds_load_b64 v[8:9], v0 offset:584
	s_waitcnt lgkmcnt(0)
	v_add_co_u32 v8, vcc_lo, v8, 1
	v_add_co_ci_u32_e32 v9, vcc_lo, 0, v9, vcc_lo
	ds_store_b64 v0, v[8:9] offset:584
.LBB2_814:                              ;   in Loop: Header=BB2_786 Depth=2
	s_or_b32 exec_lo, exec_lo, s13
	v_add_co_u32 v22, vcc_lo, v22, 2
	v_add_co_ci_u32_e32 v23, vcc_lo, 0, v23, vcc_lo
.LBB2_815:                              ;   in Loop: Header=BB2_786 Depth=2
	s_or_b32 exec_lo, exec_lo, s5
	s_and_saveexec_b32 s5, s3
	s_cbranch_execz .LBB2_837
; %bb.816:                              ;   in Loop: Header=BB2_786 Depth=2
	s_and_saveexec_b32 s13, s4
	s_delay_alu instid0(SALU_CYCLE_1)
	s_xor_b32 s13, exec_lo, s13
	s_cbranch_execz .LBB2_834
; %bb.817:                              ;   in Loop: Header=BB2_786 Depth=2
	s_and_saveexec_b32 s20, s1
	s_cbranch_execz .LBB2_833
; %bb.818:                              ;   in Loop: Header=BB2_786 Depth=2
	s_mov_b32 s30, exec_lo
	s_mov_b32 s28, exec_lo
	v_mbcnt_lo_u32_b32 v2, s30, 0
	s_waitcnt lgkmcnt(0)
	s_waitcnt_vscnt null, 0x0
	buffer_gl1_inv
	buffer_gl0_inv
	v_cmpx_eq_u32_e32 0, v2
	s_cbranch_execz .LBB2_820
; %bb.819:                              ;   in Loop: Header=BB2_786 Depth=2
	s_bcnt1_i32_b32 vcc_lo, s30
	s_delay_alu instid0(SALU_CYCLE_1)
	v_mov_b32_e32 v2, vcc_lo
	ds_add_u64 v0, v[2:3]
	s_cbranch_execnz .LBB2_1649
.LBB2_820:                              ;   in Loop: Header=BB2_786 Depth=2
	s_or_b32 exec_lo, exec_lo, s28
	s_cbranch_execnz .LBB2_1623
; %bb.821:                              ;   in Loop: Header=BB2_786 Depth=2
	ds_load_b64 v[8:9], v0
	v_add_co_u32 v12, vcc_lo, v12, v85
	v_add_co_ci_u32_e32 v13, vcc_lo, 0, v13, vcc_lo
	s_mov_b32 s28, exec_lo
	s_waitcnt lgkmcnt(0)
	s_delay_alu instid0(VALU_DEP_1)
	v_cmpx_lt_u64_e64 v[8:9], v[12:13]
	s_cbranch_execz .LBB2_832
; %bb.822:                              ;   in Loop: Header=BB2_786 Depth=2
	s_mov_b32 s30, 0
	s_mov_b32 s36, 0
                                        ; implicit-def: $sgpr31
                                        ; implicit-def: $sgpr34
	s_branch .LBB2_824
.LBB2_823:                              ;   in Loop: Header=BB2_824 Depth=3
	s_or_b32 exec_lo, exec_lo, s38
	s_delay_alu instid0(SALU_CYCLE_1) | instskip(NEXT) | instid1(SALU_CYCLE_1)
	s_and_b32 vcc_lo, exec_lo, vcc_lo
	s_or_b32 s30, vcc_lo, s30
	s_and_not1_b32 vcc_lo, s31, exec_lo
	s_and_b32 s31, s34, exec_lo
	s_delay_alu instid0(SALU_CYCLE_1)
	s_or_b32 s31, vcc_lo, s31
	s_and_not1_b32 exec_lo, exec_lo, s30
	s_cbranch_execz .LBB2_830
.LBB2_824:                              ;   Parent Loop BB2_51 Depth=1
                                        ;     Parent Loop BB2_786 Depth=2
                                        ; =>    This Inner Loop Header: Depth=3
	s_add_i32 s36, s36, 1
                                        ; implicit-def: $sgpr38
	s_delay_alu instid0(SALU_CYCLE_1) | instskip(SKIP_1) | instid1(SALU_CYCLE_1)
	s_cmpk_lg_i32 s36, 0x2710
	s_cselect_b32 s37, -1, 0
	s_and_b32 vcc_lo, exec_lo, s37
	s_cbranch_vccz .LBB2_828
.LBB2_825:                              ;   in Loop: Header=BB2_824 Depth=3
	s_and_not1_b32 s34, s34, exec_lo
	s_and_b32 s38, s38, exec_lo
	s_mov_b32 vcc_lo, -1
	s_or_b32 s34, s34, s38
	s_and_saveexec_b32 s38, s37
	s_cbranch_execz .LBB2_823
; %bb.826:                              ;   in Loop: Header=BB2_824 Depth=3
	s_sleep 1
	s_cbranch_execnz .LBB2_1693
; %bb.827:                              ;   in Loop: Header=BB2_824 Depth=3
	ds_load_b64 v[8:9], v0
	s_and_not1_b32 s34, s34, exec_lo
	s_waitcnt lgkmcnt(0)
	v_cmp_ge_u64_e32 vcc_lo, v[8:9], v[12:13]
	s_or_not1_b32 vcc_lo, vcc_lo, exec_lo
	s_branch .LBB2_823
.LBB2_828:                              ;   in Loop: Header=BB2_824 Depth=3
	s_cbranch_execnz .LBB2_1705
; %bb.829:                              ;   in Loop: Header=BB2_824 Depth=3
	ds_load_b64 v[8:9], v0
	s_and_not1_b32 s37, s37, exec_lo
	s_mov_b32 s36, 0
	s_mov_b32 s38, -1
	s_waitcnt lgkmcnt(0)
	flat_load_b32 v2, v[8:9] glc
	s_waitcnt vmcnt(0) lgkmcnt(0)
	buffer_gl1_inv
	buffer_gl0_inv
	v_cmp_eq_u32_e32 vcc_lo, 0, v2
	s_and_b32 vcc_lo, vcc_lo, exec_lo
	s_delay_alu instid0(SALU_CYCLE_1)
	s_or_b32 s37, s37, vcc_lo
	s_branch .LBB2_825
.LBB2_830:                              ;   in Loop: Header=BB2_786 Depth=2
	s_or_b32 exec_lo, exec_lo, s30
	s_and_saveexec_b32 vcc_lo, s31
	s_delay_alu instid0(SALU_CYCLE_1)
	s_xor_b32 vcc_lo, exec_lo, vcc_lo
	s_cbranch_execz .LBB2_832
; %bb.831:                              ;   in Loop: Header=BB2_786 Depth=2
	ds_store_b32 v0, v118
	s_cbranch_execnz .LBB2_1903
.LBB2_832:                              ;   in Loop: Header=BB2_786 Depth=2
	s_or_b32 exec_lo, exec_lo, s28
	;;#ASMSTART
	s_wakeup
	;;#ASMEND
.LBB2_833:                              ;   in Loop: Header=BB2_786 Depth=2
	s_or_b32 exec_lo, exec_lo, s20
.LBB2_834:                              ;   in Loop: Header=BB2_786 Depth=2
	s_and_not1_saveexec_b32 s13, s13
	s_cbranch_execz .LBB2_836
; %bb.835:                              ;   in Loop: Header=BB2_786 Depth=2
	s_waitcnt lgkmcnt(0)
	s_waitcnt_vscnt null, 0x0
	buffer_gl1_inv
	buffer_gl0_inv
	s_barrier
.LBB2_836:                              ;   in Loop: Header=BB2_786 Depth=2
	s_or_b32 exec_lo, exec_lo, s13
.LBB2_837:                              ;   in Loop: Header=BB2_786 Depth=2
	s_delay_alu instid0(SALU_CYCLE_1) | instskip(SKIP_1) | instid1(SALU_CYCLE_1)
	s_or_b32 exec_lo, exec_lo, s5
                                        ; implicit-def: $vgpr2
	s_and_saveexec_b32 s5, s7
	s_xor_b32 s5, exec_lo, s5
	s_cbranch_execz .LBB2_842
; %bb.838:                              ;   in Loop: Header=BB2_786 Depth=2
	s_cbranch_execnz .LBB2_1547
; %bb.839:                              ;   in Loop: Header=BB2_786 Depth=2
	ds_load_b32 v2, v0
	v_cmp_lt_i32_e32 vcc_lo, 0, v52
	s_waitcnt lgkmcnt(0)
	v_readfirstlane_b32 s13, v2
	v_and_b32_e32 v2, 16, v30
	s_delay_alu instid0(VALU_DEP_2) | instskip(NEXT) | instid1(VALU_DEP_1)
	s_cmp_eq_u32 s13, 0
	v_cmp_ne_u32_e64 s13, 0, v2
	s_cselect_b32 s20, -1, 0
	v_and_b32_e32 v2, 16, v30
	s_and_b32 s20, vcc_lo, s20
	s_delay_alu instid0(VALU_DEP_2) | instid1(SALU_CYCLE_1)
	s_and_b32 s20, s13, s20
	s_delay_alu instid0(SALU_CYCLE_1)
	s_and_saveexec_b32 s13, s20
	s_cbranch_execz .LBB2_841
; %bb.840:                              ;   in Loop: Header=BB2_786 Depth=2
	v_mov_b32_e32 v2, 1
	s_waitcnt_vscnt null, 0x0
	buffer_gl1_inv
	buffer_gl0_inv
.LBB2_841:                              ;   in Loop: Header=BB2_786 Depth=2
	s_or_b32 exec_lo, exec_lo, s13
.LBB2_842:                              ;   in Loop: Header=BB2_786 Depth=2
	s_and_not1_saveexec_b32 s5, s5
	s_cbranch_execz .LBB2_864
; %bb.843:                              ;   in Loop: Header=BB2_786 Depth=2
	s_and_saveexec_b32 s13, s4
	s_delay_alu instid0(SALU_CYCLE_1)
	s_xor_b32 s13, exec_lo, s13
	s_cbranch_execz .LBB2_861
; %bb.844:                              ;   in Loop: Header=BB2_786 Depth=2
	s_and_saveexec_b32 s20, s1
	s_cbranch_execz .LBB2_860
; %bb.845:                              ;   in Loop: Header=BB2_786 Depth=2
	s_mov_b32 s30, exec_lo
	s_mov_b32 s28, exec_lo
	v_mbcnt_lo_u32_b32 v2, s30, 0
	;;#ASMSTART
	s_waitcnt lgkmcnt(0) vmcnt(0)
	;;#ASMEND
	s_delay_alu instid0(VALU_DEP_1)
	v_cmpx_eq_u32_e32 0, v2
	s_cbranch_execz .LBB2_847
; %bb.846:                              ;   in Loop: Header=BB2_786 Depth=2
	s_bcnt1_i32_b32 vcc_lo, s30
	s_delay_alu instid0(SALU_CYCLE_1)
	v_mov_b32_e32 v2, vcc_lo
	ds_add_u64 v0, v[2:3]
	s_cbranch_execnz .LBB2_1659
.LBB2_847:                              ;   in Loop: Header=BB2_786 Depth=2
	s_or_b32 exec_lo, exec_lo, s28
	s_cbranch_execnz .LBB2_1647
; %bb.848:                              ;   in Loop: Header=BB2_786 Depth=2
	ds_load_b64 v[8:9], v0
	v_add_co_u32 v12, vcc_lo, v12, v85
	v_add_co_ci_u32_e32 v13, vcc_lo, 0, v13, vcc_lo
	s_mov_b32 s28, exec_lo
	s_waitcnt lgkmcnt(0)
	s_delay_alu instid0(VALU_DEP_1)
	v_cmpx_lt_u64_e64 v[8:9], v[12:13]
	s_cbranch_execz .LBB2_859
; %bb.849:                              ;   in Loop: Header=BB2_786 Depth=2
	s_mov_b32 s30, 0
	s_mov_b32 s36, 0
                                        ; implicit-def: $sgpr31
                                        ; implicit-def: $sgpr34
	s_branch .LBB2_851
.LBB2_850:                              ;   in Loop: Header=BB2_851 Depth=3
	s_or_b32 exec_lo, exec_lo, s38
	s_delay_alu instid0(SALU_CYCLE_1) | instskip(NEXT) | instid1(SALU_CYCLE_1)
	s_and_b32 vcc_lo, exec_lo, vcc_lo
	s_or_b32 s30, vcc_lo, s30
	s_and_not1_b32 vcc_lo, s31, exec_lo
	s_and_b32 s31, s34, exec_lo
	s_delay_alu instid0(SALU_CYCLE_1)
	s_or_b32 s31, vcc_lo, s31
	s_and_not1_b32 exec_lo, exec_lo, s30
	s_cbranch_execz .LBB2_857
.LBB2_851:                              ;   Parent Loop BB2_51 Depth=1
                                        ;     Parent Loop BB2_786 Depth=2
                                        ; =>    This Inner Loop Header: Depth=3
	s_add_i32 s36, s36, 1
                                        ; implicit-def: $sgpr38
	s_delay_alu instid0(SALU_CYCLE_1) | instskip(SKIP_1) | instid1(SALU_CYCLE_1)
	s_cmpk_lg_i32 s36, 0x2710
	s_cselect_b32 s37, -1, 0
	s_and_b32 vcc_lo, exec_lo, s37
	s_cbranch_vccz .LBB2_855
.LBB2_852:                              ;   in Loop: Header=BB2_851 Depth=3
	s_and_not1_b32 s34, s34, exec_lo
	s_and_b32 s38, s38, exec_lo
	s_mov_b32 vcc_lo, -1
	s_or_b32 s34, s34, s38
	s_and_saveexec_b32 s38, s37
	s_cbranch_execz .LBB2_850
; %bb.853:                              ;   in Loop: Header=BB2_851 Depth=3
	s_sleep 1
	s_cbranch_execnz .LBB2_1717
; %bb.854:                              ;   in Loop: Header=BB2_851 Depth=3
	ds_load_b64 v[8:9], v0
	s_and_not1_b32 s34, s34, exec_lo
	s_waitcnt lgkmcnt(0)
	v_cmp_ge_u64_e32 vcc_lo, v[8:9], v[12:13]
	s_or_not1_b32 vcc_lo, vcc_lo, exec_lo
	s_branch .LBB2_850
.LBB2_855:                              ;   in Loop: Header=BB2_851 Depth=3
	s_cbranch_execnz .LBB2_1729
; %bb.856:                              ;   in Loop: Header=BB2_851 Depth=3
	ds_load_b64 v[8:9], v0
	s_and_not1_b32 s37, s37, exec_lo
	s_mov_b32 s36, 0
	s_mov_b32 s38, -1
	s_waitcnt lgkmcnt(0)
	s_waitcnt_vscnt null, 0x0
	flat_load_b32 v2, v[8:9] glc
	s_waitcnt vmcnt(0) lgkmcnt(0)
	buffer_gl1_inv
	buffer_gl0_inv
	v_cmp_eq_u32_e32 vcc_lo, 0, v2
	s_and_b32 vcc_lo, vcc_lo, exec_lo
	s_delay_alu instid0(SALU_CYCLE_1)
	s_or_b32 s37, s37, vcc_lo
	s_branch .LBB2_852
.LBB2_857:                              ;   in Loop: Header=BB2_786 Depth=2
	s_or_b32 exec_lo, exec_lo, s30
	s_and_saveexec_b32 vcc_lo, s31
	s_delay_alu instid0(SALU_CYCLE_1)
	s_xor_b32 vcc_lo, exec_lo, vcc_lo
	s_cbranch_execz .LBB2_859
; %bb.858:                              ;   in Loop: Header=BB2_786 Depth=2
	ds_store_b32 v0, v118
	s_cbranch_execnz .LBB2_1915
.LBB2_859:                              ;   in Loop: Header=BB2_786 Depth=2
	s_or_b32 exec_lo, exec_lo, s28
	;;#ASMSTART
	s_wakeup
	;;#ASMEND
.LBB2_860:                              ;   in Loop: Header=BB2_786 Depth=2
	s_or_b32 exec_lo, exec_lo, s20
.LBB2_861:                              ;   in Loop: Header=BB2_786 Depth=2
	s_and_not1_saveexec_b32 s13, s13
	s_cbranch_execz .LBB2_863
; %bb.862:                              ;   in Loop: Header=BB2_786 Depth=2
	;;#ASMSTART
	s_waitcnt lgkmcnt(0) vmcnt(0)
	;;#ASMEND
	s_waitcnt lgkmcnt(0)
	s_waitcnt_vscnt null, 0x0
	s_barrier
.LBB2_863:                              ;   in Loop: Header=BB2_786 Depth=2
	s_or_b32 exec_lo, exec_lo, s13
	v_and_b32_e32 v2, 16, v30
.LBB2_864:                              ;   in Loop: Header=BB2_786 Depth=2
	s_or_b32 exec_lo, exec_lo, s5
	s_delay_alu instid0(VALU_DEP_1) | instskip(SKIP_1) | instid1(SALU_CYCLE_1)
	v_cmp_ne_u32_e32 vcc_lo, 0, v2
	s_xor_b32 s5, s6, -1
	s_and_b32 s13, vcc_lo, s5
	s_delay_alu instid0(SALU_CYCLE_1)
	s_and_saveexec_b32 s5, s13
	s_cbranch_execz .LBB2_866
; %bb.865:                              ;   in Loop: Header=BB2_786 Depth=2
	s_waitcnt lgkmcnt(0)
	s_waitcnt_vscnt null, 0x0
	flat_store_b32 v[26:27], v118
.LBB2_866:                              ;   in Loop: Header=BB2_786 Depth=2
	s_or_b32 exec_lo, exec_lo, s5
	v_and_b32_e32 v2, 48, v30
	s_mov_b32 s5, exec_lo
	s_delay_alu instid0(VALU_DEP_1)
	v_cmpx_ne_u32_e32 0, v2
	s_cbranch_execz .LBB2_868
; %bb.867:                              ;   in Loop: Header=BB2_786 Depth=2
	v_add_co_u32 v22, vcc_lo, v22, 2
	v_add_co_ci_u32_e32 v23, vcc_lo, 0, v23, vcc_lo
	s_waitcnt lgkmcnt(0)
	s_waitcnt_vscnt null, 0x0
	flat_store_b64 v[20:21], v[22:23]
.LBB2_868:                              ;   in Loop: Header=BB2_786 Depth=2
	s_or_b32 exec_lo, exec_lo, s5
	v_add_nc_u32_e32 v54, v52, v54
	s_mov_b32 s5, 0
	s_and_not1_b32 exec_lo, exec_lo, s17
	s_cbranch_execnz .LBB2_786
; %bb.869:                              ;   in Loop: Header=BB2_51 Depth=1
	s_or_b32 exec_lo, exec_lo, s17
	s_mov_b32 s31, s16
	s_mov_b32 s34, s15
	;; [unrolled: 1-line block ×3, first 2 shown]
.LBB2_870:                              ;   in Loop: Header=BB2_51 Depth=1
	v_writelane_b32 v42, s35, 8
	v_writelane_b32 v42, s31, 9
	v_writelane_b32 v42, s13, 10
	s_or_b32 exec_lo, exec_lo, s10
	s_mov_b32 s16, s34
	s_mov_b32 s17, s14
	s_and_not1_b32 vcc_lo, exec_lo, s29
	s_cbranch_vccnz .LBB2_1170
; %bb.871:                              ;   in Loop: Header=BB2_51 Depth=1
	s_mov_b32 s5, 1
.LBB2_872:                              ;   Parent Loop BB2_51 Depth=1
                                        ; =>  This Loop Header: Depth=2
                                        ;       Child Loop BB2_874 Depth 3
                                        ;         Child Loop BB2_883 Depth 4
                                        ;         Child Loop BB2_915 Depth 4
	;; [unrolled: 1-line block ×4, first 2 shown]
                                        ;           Child Loop BB2_964 Depth 5
                                        ;         Child Loop BB2_971 Depth 4
                                        ;           Child Loop BB2_972 Depth 5
                                        ;         Child Loop BB2_983 Depth 4
	;; [unrolled: 2-line block ×4, first 2 shown]
                                        ;         Child Loop BB2_1012 Depth 4
                                        ;         Child Loop BB2_1022 Depth 4
	;; [unrolled: 1-line block ×5, first 2 shown]
                                        ;       Child Loop BB2_1087 Depth 3
                                        ;         Child Loop BB2_1093 Depth 4
                                        ;         Child Loop BB2_1123 Depth 4
	;; [unrolled: 1-line block ×3, first 2 shown]
	s_delay_alu instid0(SALU_CYCLE_1)
	v_writelane_b32 v42, s5, 15
	s_sub_i32 s5, s24, s5
	v_mov_b32_e32 v54, 0
	s_cmp_le_i32 s19, s5
	s_mov_b32 s31, 0
	s_cselect_b32 s10, s19, 0
	s_delay_alu instid0(SALU_CYCLE_1) | instskip(NEXT) | instid1(SALU_CYCLE_1)
	s_sub_i32 s5, s5, s10
	s_ashr_i32 s10, s5, 31
	v_mul_lo_u32 v2, v39, s5
	v_mad_u64_u32 v[8:9], null, v38, s5, 0
	v_mul_lo_u32 v10, v38, s10
	s_delay_alu instid0(VALU_DEP_1) | instskip(NEXT) | instid1(VALU_DEP_3)
	v_add3_u32 v9, v9, v10, v2
	v_sub_co_u32 v10, vcc_lo, v48, v8
	s_delay_alu instid0(VALU_DEP_2) | instskip(NEXT) | instid1(VALU_DEP_1)
	v_sub_co_ci_u32_e32 v11, vcc_lo, v49, v9, vcc_lo
	v_cmp_lt_i64_e32 vcc_lo, v[38:39], v[10:11]
	v_cndmask_b32_e32 v10, v10, v38, vcc_lo
	s_delay_alu instid0(VALU_DEP_1) | instskip(SKIP_1) | instid1(VALU_DEP_2)
	v_max_i32_e32 v68, 0, v10
	v_cmp_lt_i32_e32 vcc_lo, 0, v10
	v_add_nc_u32_e32 v2, 31, v68
	s_and_b32 s5, s16, vcc_lo
	s_delay_alu instid0(VALU_DEP_1) | instskip(NEXT) | instid1(VALU_DEP_1)
	v_lshrrev_b32_e32 v2, 1, v2
	v_dual_mov_b32 v2, 0 :: v_dual_and_b32 v11, 0x3ffffff0, v2
	s_delay_alu instid0(VALU_DEP_1)
	v_max_i32_e32 v52, s25, v11
	s_and_saveexec_b32 s30, s5
	s_cbranch_execz .LBB2_1085
; %bb.873:                              ;   in Loop: Header=BB2_872 Depth=2
	v_add_co_u32 v8, vcc_lo, v8, v50
	v_add_co_ci_u32_e32 v9, vcc_lo, v9, v51, vcc_lo
	v_mov_b32_e32 v54, 0
	s_mov_b32 s35, 1
	s_mov_b32 s34, -1
	s_delay_alu instid0(VALU_DEP_2)
	v_lshlrev_b64 v[64:65], 3, v[8:9]
.LBB2_874:                              ;   Parent Loop BB2_51 Depth=1
                                        ;     Parent Loop BB2_872 Depth=2
                                        ; =>    This Loop Header: Depth=3
                                        ;         Child Loop BB2_883 Depth 4
                                        ;         Child Loop BB2_915 Depth 4
	;; [unrolled: 1-line block ×4, first 2 shown]
                                        ;           Child Loop BB2_964 Depth 5
                                        ;         Child Loop BB2_971 Depth 4
                                        ;           Child Loop BB2_972 Depth 5
                                        ;         Child Loop BB2_983 Depth 4
	;; [unrolled: 2-line block ×4, first 2 shown]
                                        ;         Child Loop BB2_1012 Depth 4
                                        ;         Child Loop BB2_1022 Depth 4
	;; [unrolled: 1-line block ×5, first 2 shown]
	s_and_saveexec_b32 s5, s0
	s_cbranch_execz .LBB2_877
; %bb.875:                              ;   in Loop: Header=BB2_874 Depth=3
	s_cbranch_execnz .LBB2_1571
; %bb.876:                              ;   in Loop: Header=BB2_874 Depth=3
	ds_load_b128 v[8:11], v0
	v_ashrrev_i32_e32 v55, 31, v54
	s_delay_alu instid0(VALU_DEP_1)
	v_lshlrev_b64 v[66:67], 3, v[54:55]
	s_waitcnt lgkmcnt(0)
	v_add_co_u32 v2, vcc_lo, v10, v64
	v_add_co_ci_u32_e32 v53, vcc_lo, v11, v65, vcc_lo
	v_add_co_u32 v8, vcc_lo, v8, v64
	v_add_co_ci_u32_e32 v9, vcc_lo, v9, v65, vcc_lo
	s_delay_alu instid0(VALU_DEP_4) | instskip(NEXT) | instid1(VALU_DEP_4)
	v_add_co_u32 v2, vcc_lo, v2, v66
	v_add_co_ci_u32_e32 v53, vcc_lo, v53, v67, vcc_lo
	v_cmp_ne_u64_e32 vcc_lo, 0, v[10:11]
	v_add_co_u32 v8, s13, v8, v66
	s_delay_alu instid0(VALU_DEP_1) | instskip(NEXT) | instid1(VALU_DEP_4)
	v_add_co_ci_u32_e64 v9, s13, v9, v67, s13
	v_dual_cndmask_b32 v11, 0, v53 :: v_dual_cndmask_b32 v10, 0, v2
	ds_store_b64 v0, v[8:9]
	ds_store_b64 v0, v[10:11]
.LBB2_877:                              ;   in Loop: Header=BB2_874 Depth=3
	s_or_b32 exec_lo, exec_lo, s5
	v_and_b32_e32 v2, 12, v30
	s_mov_b32 s10, -1
	s_mov_b32 s5, exec_lo
	s_delay_alu instid0(VALU_DEP_1)
	v_cmpx_ne_u32_e32 0, v2
	s_cbranch_execz .LBB2_891
; %bb.878:                              ;   in Loop: Header=BB2_874 Depth=3
	v_and_b32_e32 v2, 8, v30
	s_delay_alu instid0(VALU_DEP_1) | instskip(SKIP_3) | instid1(VALU_DEP_1)
	v_add_co_u32 v10, vcc_lo, v28, v2
	v_add_co_ci_u32_e32 v11, vcc_lo, 0, v29, vcc_lo
	v_add_co_u32 v8, vcc_lo, v22, 2
	v_add_co_ci_u32_e32 v9, vcc_lo, 0, v23, vcc_lo
	v_cmp_lt_u64_e32 vcc_lo, v[10:11], v[8:9]
	v_mov_b32_e32 v10, 1
	s_and_saveexec_b32 s10, vcc_lo
	s_cbranch_execz .LBB2_890
; %bb.879:                              ;   in Loop: Header=BB2_874 Depth=3
	v_mov_b32_e32 v10, 0
	s_mov_b32 s12, 0
                                        ; implicit-def: $sgpr13
	s_branch .LBB2_883
.LBB2_880:                              ;   in Loop: Header=BB2_883 Depth=4
	s_or_b32 exec_lo, exec_lo, s28
	v_mov_b32_e32 v11, 0
	s_or_not1_b32 s20, s20, exec_lo
.LBB2_881:                              ;   in Loop: Header=BB2_883 Depth=4
	s_or_b32 exec_lo, exec_lo, s15
	s_delay_alu instid0(VALU_DEP_1) | instskip(SKIP_2) | instid1(SALU_CYCLE_1)
	v_mov_b32_e32 v10, v11
	s_and_not1_b32 s13, s13, exec_lo
	s_and_b32 s15, s20, exec_lo
	s_or_b32 s13, s13, s15
.LBB2_882:                              ;   in Loop: Header=BB2_883 Depth=4
	s_or_b32 exec_lo, exec_lo, s14
	s_waitcnt vmcnt(0) lgkmcnt(0)
	v_add_co_u32 v66, vcc_lo, v28, v2
	v_add_co_ci_u32_e32 v67, vcc_lo, 0, v29, vcc_lo
	s_xor_b32 s14, s13, -1
	s_delay_alu instid0(VALU_DEP_1) | instskip(SKIP_1) | instid1(SALU_CYCLE_1)
	v_cmp_ge_u64_e32 vcc_lo, v[66:67], v[8:9]
	s_or_b32 s14, s14, vcc_lo
	s_and_b32 s14, exec_lo, s14
	s_delay_alu instid0(SALU_CYCLE_1) | instskip(NEXT) | instid1(SALU_CYCLE_1)
	s_or_b32 s12, s14, s12
	s_and_not1_b32 exec_lo, exec_lo, s12
	s_cbranch_execz .LBB2_889
.LBB2_883:                              ;   Parent Loop BB2_51 Depth=1
                                        ;     Parent Loop BB2_872 Depth=2
                                        ;       Parent Loop BB2_874 Depth=3
                                        ; =>      This Inner Loop Header: Depth=4
	s_sleep 1
	flat_load_b64 v[28:29], v[20:21] glc
	v_and_b32_e32 v11, 64, v30
	s_and_not1_b32 s13, s13, exec_lo
	s_mov_b32 s14, exec_lo
	s_delay_alu instid0(VALU_DEP_1)
	v_cmpx_eq_u32_e32 0, v11
	s_cbranch_execz .LBB2_882
; %bb.884:                              ;   in Loop: Header=BB2_883 Depth=4
	v_add_nc_u32_e32 v11, 1, v10
	s_mov_b32 s20, -1
	s_mov_b32 s15, exec_lo
	v_cmpx_lt_i32_e32 0x270e, v10
	s_cbranch_execz .LBB2_881
; %bb.885:                              ;   in Loop: Header=BB2_883 Depth=4
	s_cbranch_execnz .LBB2_1613
; %bb.886:                              ;   in Loop: Header=BB2_883 Depth=4
	ds_load_b64 v[10:11], v0
	s_mov_b32 s28, exec_lo
	s_waitcnt vmcnt(0) lgkmcnt(0)
	s_waitcnt_vscnt null, 0x0
	flat_load_b32 v10, v[10:11] glc
	s_waitcnt vmcnt(0) lgkmcnt(0)
	buffer_gl1_inv
	buffer_gl0_inv
	v_cmpx_ne_u32_e32 0, v10
	s_cbranch_execz .LBB2_880
; %bb.887:                              ;   in Loop: Header=BB2_883 Depth=4
	ds_store_b32 v0, v10
	s_cbranch_execnz .LBB2_1691
; %bb.888:                              ;   in Loop: Header=BB2_883 Depth=4
	v_or_b32_e32 v30, 64, v30
	s_xor_b32 s20, exec_lo, -1
	s_branch .LBB2_880
.LBB2_889:                              ;   in Loop: Header=BB2_874 Depth=3
	s_or_b32 exec_lo, exec_lo, s12
	v_and_b32_e32 v10, 12, v30
.LBB2_890:                              ;   in Loop: Header=BB2_874 Depth=3
	s_or_b32 exec_lo, exec_lo, s10
	s_delay_alu instid0(VALU_DEP_1)
	v_cmp_eq_u32_e32 vcc_lo, 0, v10
	;;#ASMSTART
	s_wakeup
	;;#ASMEND
	s_or_not1_b32 s10, vcc_lo, exec_lo
.LBB2_891:                              ;   in Loop: Header=BB2_874 Depth=3
	s_or_b32 exec_lo, exec_lo, s5
	v_sub_nc_u32_e32 v2, v68, v54
	s_xor_b32 s10, s10, -1
	s_delay_alu instid0(VALU_DEP_1)
	v_min_i32_e32 v52, v52, v2
	s_and_saveexec_b32 s5, s10
	s_cbranch_execz .LBB2_906
; %bb.892:                              ;   in Loop: Header=BB2_874 Depth=3
	v_and_b32_e32 v2, 0x108, v30
	s_mov_b32 s10, exec_lo
	s_delay_alu instid0(VALU_DEP_1)
	v_cmpx_ne_u32_e32 0x108, v2
	s_xor_b32 s10, exec_lo, s10
                                        ; implicit-def: $vgpr8_vgpr9
; %bb.893:                              ;   in Loop: Header=BB2_874 Depth=3
	v_and_b32_e32 v8, 7, v22
; %bb.894:                              ;   in Loop: Header=BB2_874 Depth=3
	s_and_not1_saveexec_b32 s10, s10
	s_cbranch_execz .LBB2_896
; %bb.895:                              ;   in Loop: Header=BB2_874 Depth=3
	v_and_b32_e32 v8, 7, v22
	v_ashrrev_i32_e32 v53, 31, v52
	s_delay_alu instid0(VALU_DEP_2) | instskip(NEXT) | instid1(VALU_DEP_2)
	v_mad_u64_u32 v[9:10], null, v8, 24, v[6:7]
	v_lshlrev_b64 v[66:67], 3, v[52:53]
	flat_store_b64 v[9:10], v[66:67] offset:8
.LBB2_896:                              ;   in Loop: Header=BB2_874 Depth=3
	s_or_b32 exec_lo, exec_lo, s10
	v_and_b32_e32 v2, 0x100, v30
	s_mov_b32 s12, -1
	s_mov_b32 s10, exec_lo
                                        ; implicit-def: $vgpr9_vgpr10
	s_delay_alu instid0(VALU_DEP_1)
	v_cmpx_ne_u32_e32 0, v2
	s_cbranch_execnz .LBB2_899
; %bb.897:                              ;   in Loop: Header=BB2_874 Depth=3
	s_or_b32 exec_lo, exec_lo, s10
	s_and_saveexec_b32 s10, s12
	s_cbranch_execnz .LBB2_902
.LBB2_898:                              ;   in Loop: Header=BB2_874 Depth=3
	s_or_b32 exec_lo, exec_lo, s10
	s_cbranch_execnz .LBB2_1603
	s_branch .LBB2_903
.LBB2_899:                              ;   in Loop: Header=BB2_874 Depth=3
	v_mad_u64_u32 v[66:67], null, v8, 24, v[6:7]
	s_mov_b32 s12, exec_lo
	s_delay_alu instid0(VALU_DEP_1) | instskip(NEXT) | instid1(VALU_DEP_1)
	v_mov_b32_e32 v2, v67
	v_mad_u64_u32 v[9:10], null, v3, 24, v[2:3]
	s_delay_alu instid0(VALU_DEP_1)
	v_mov_b32_e32 v67, v9
                                        ; implicit-def: $vgpr9_vgpr10
	flat_load_b32 v2, v[66:67]
	s_waitcnt vmcnt(0) lgkmcnt(0)
	v_cmp_ne_u32_e32 vcc_lo, 1, v2
	v_cmpx_eq_u32_e32 1, v2
	s_cbranch_execz .LBB2_901
; %bb.900:                              ;   in Loop: Header=BB2_874 Depth=3
	flat_load_b32 v9, v[66:67] offset:4 glc
	s_waitcnt vmcnt(0) lgkmcnt(0)
	v_ashrrev_i32_e32 v10, 31, v9
	s_delay_alu instid0(VALU_DEP_1)
	v_lshrrev_b64 v[9:10], 3, v[9:10]
.LBB2_901:                              ;   in Loop: Header=BB2_874 Depth=3
	s_or_b32 exec_lo, exec_lo, s12
	s_delay_alu instid0(SALU_CYCLE_1)
	s_or_not1_b32 s12, vcc_lo, exec_lo
	s_or_b32 exec_lo, exec_lo, s10
	s_and_saveexec_b32 s10, s12
	s_cbranch_execz .LBB2_898
.LBB2_902:                              ;   in Loop: Header=BB2_874 Depth=3
	v_mul_lo_u32 v2, v3, v83
	v_mul_lo_u32 v11, v8, v84
	v_mad_u64_u32 v[9:10], null, v8, v83, 0
	s_delay_alu instid0(VALU_DEP_1)
	v_add3_u32 v10, v10, v11, v2
	s_or_b32 exec_lo, exec_lo, s10
	s_cbranch_execnz .LBB2_1603
.LBB2_903:                              ;   in Loop: Header=BB2_874 Depth=3
	s_delay_alu instid0(VALU_DEP_1) | instskip(SKIP_2) | instid1(VALU_DEP_2)
	v_lshlrev_b64 v[8:9], 3, v[9:10]
	v_and_b32_e32 v2, 0x2000, v30
	s_mov_b32 s10, exec_lo
	v_add_co_u32 v8, vcc_lo, v24, v8
	s_delay_alu instid0(VALU_DEP_3)
	v_add_co_ci_u32_e32 v9, vcc_lo, v25, v9, vcc_lo
	ds_store_b64 v0, v[8:9]
	v_cmpx_ne_u32_e32 0, v2
	s_cbranch_execz .LBB2_905
; %bb.904:                              ;   in Loop: Header=BB2_874 Depth=3
	ds_load_b64 v[8:9], v0 offset:584
	s_waitcnt lgkmcnt(0)
	v_add_co_u32 v8, vcc_lo, v8, 1
	v_add_co_ci_u32_e32 v9, vcc_lo, 0, v9, vcc_lo
	ds_store_b64 v0, v[8:9] offset:584
.LBB2_905:                              ;   in Loop: Header=BB2_874 Depth=3
	s_or_b32 exec_lo, exec_lo, s10
	v_add_co_u32 v22, vcc_lo, v22, 2
	v_add_co_ci_u32_e32 v23, vcc_lo, 0, v23, vcc_lo
.LBB2_906:                              ;   in Loop: Header=BB2_874 Depth=3
	s_or_b32 exec_lo, exec_lo, s5
	s_and_saveexec_b32 s5, s3
	s_cbranch_execz .LBB2_928
; %bb.907:                              ;   in Loop: Header=BB2_874 Depth=3
	s_and_saveexec_b32 s10, s4
	s_delay_alu instid0(SALU_CYCLE_1)
	s_xor_b32 s10, exec_lo, s10
	s_cbranch_execz .LBB2_925
; %bb.908:                              ;   in Loop: Header=BB2_874 Depth=3
	s_and_saveexec_b32 s12, s1
	s_cbranch_execz .LBB2_924
; %bb.909:                              ;   in Loop: Header=BB2_874 Depth=3
	s_mov_b32 s14, exec_lo
	s_mov_b32 s13, exec_lo
	v_mbcnt_lo_u32_b32 v2, s14, 0
	s_waitcnt lgkmcnt(0)
	s_waitcnt_vscnt null, 0x0
	buffer_gl1_inv
	buffer_gl0_inv
	v_cmpx_eq_u32_e32 0, v2
	s_cbranch_execz .LBB2_911
; %bb.910:                              ;   in Loop: Header=BB2_874 Depth=3
	s_bcnt1_i32_b32 s14, s14
	s_delay_alu instid0(SALU_CYCLE_1)
	v_mov_b32_e32 v2, s14
	ds_add_u64 v0, v[2:3]
	s_cbranch_execnz .LBB2_1747
.LBB2_911:                              ;   in Loop: Header=BB2_874 Depth=3
	s_or_b32 exec_lo, exec_lo, s13
	s_cbranch_execnz .LBB2_1719
; %bb.912:                              ;   in Loop: Header=BB2_874 Depth=3
	ds_load_b64 v[8:9], v0
	v_add_co_u32 v12, vcc_lo, v12, v85
	v_add_co_ci_u32_e32 v13, vcc_lo, 0, v13, vcc_lo
	s_mov_b32 s13, exec_lo
	s_waitcnt lgkmcnt(0)
	s_delay_alu instid0(VALU_DEP_1)
	v_cmpx_lt_u64_e64 v[8:9], v[12:13]
	s_cbranch_execz .LBB2_923
; %bb.913:                              ;   in Loop: Header=BB2_874 Depth=3
	s_mov_b32 s14, 0
	s_mov_b32 s28, 0
                                        ; implicit-def: $sgpr15
                                        ; implicit-def: $sgpr20
	s_branch .LBB2_915
.LBB2_914:                              ;   in Loop: Header=BB2_915 Depth=4
	s_or_b32 exec_lo, exec_lo, s37
	s_delay_alu instid0(SALU_CYCLE_1) | instskip(NEXT) | instid1(SALU_CYCLE_1)
	s_and_b32 vcc_lo, exec_lo, vcc_lo
	s_or_b32 s14, vcc_lo, s14
	s_and_not1_b32 s15, s15, exec_lo
	s_and_b32 vcc_lo, s20, exec_lo
	s_delay_alu instid0(SALU_CYCLE_1)
	s_or_b32 s15, s15, vcc_lo
	s_and_not1_b32 exec_lo, exec_lo, s14
	s_cbranch_execz .LBB2_921
.LBB2_915:                              ;   Parent Loop BB2_51 Depth=1
                                        ;     Parent Loop BB2_872 Depth=2
                                        ;       Parent Loop BB2_874 Depth=3
                                        ; =>      This Inner Loop Header: Depth=4
	s_add_i32 s28, s28, 1
                                        ; implicit-def: $sgpr37
	s_delay_alu instid0(SALU_CYCLE_1) | instskip(SKIP_1) | instid1(SALU_CYCLE_1)
	s_cmpk_lg_i32 s28, 0x2710
	s_cselect_b32 s36, -1, 0
	s_and_b32 vcc_lo, exec_lo, s36
	s_cbranch_vccz .LBB2_919
.LBB2_916:                              ;   in Loop: Header=BB2_915 Depth=4
	s_and_not1_b32 s20, s20, exec_lo
	s_and_b32 s37, s37, exec_lo
	s_mov_b32 vcc_lo, -1
	s_or_b32 s20, s20, s37
	s_and_saveexec_b32 s37, s36
	s_cbranch_execz .LBB2_914
; %bb.917:                              ;   in Loop: Header=BB2_915 Depth=4
	s_sleep 1
	s_cbranch_execnz .LBB2_1799
; %bb.918:                              ;   in Loop: Header=BB2_915 Depth=4
	ds_load_b64 v[8:9], v0
	s_and_not1_b32 s20, s20, exec_lo
	s_waitcnt lgkmcnt(0)
	v_cmp_ge_u64_e32 vcc_lo, v[8:9], v[12:13]
	s_or_not1_b32 vcc_lo, vcc_lo, exec_lo
	s_branch .LBB2_914
.LBB2_919:                              ;   in Loop: Header=BB2_915 Depth=4
	s_cbranch_execnz .LBB2_1819
; %bb.920:                              ;   in Loop: Header=BB2_915 Depth=4
	ds_load_b64 v[8:9], v0
	s_and_not1_b32 s36, s36, exec_lo
	s_mov_b32 s28, 0
	s_mov_b32 s37, -1
	s_waitcnt lgkmcnt(0)
	flat_load_b32 v2, v[8:9] glc
	s_waitcnt vmcnt(0) lgkmcnt(0)
	buffer_gl1_inv
	buffer_gl0_inv
	v_cmp_eq_u32_e32 vcc_lo, 0, v2
	s_and_b32 vcc_lo, vcc_lo, exec_lo
	s_delay_alu instid0(SALU_CYCLE_1)
	s_or_b32 s36, s36, vcc_lo
	s_branch .LBB2_916
.LBB2_921:                              ;   in Loop: Header=BB2_874 Depth=3
	s_or_b32 exec_lo, exec_lo, s14
	s_and_saveexec_b32 s14, s15
	s_delay_alu instid0(SALU_CYCLE_1)
	s_xor_b32 s14, exec_lo, s14
	s_cbranch_execz .LBB2_923
; %bb.922:                              ;   in Loop: Header=BB2_874 Depth=3
	ds_store_b32 v0, v118
	s_cbranch_execnz .LBB2_1933
.LBB2_923:                              ;   in Loop: Header=BB2_874 Depth=3
	s_or_b32 exec_lo, exec_lo, s13
	;;#ASMSTART
	s_wakeup
	;;#ASMEND
.LBB2_924:                              ;   in Loop: Header=BB2_874 Depth=3
	s_or_b32 exec_lo, exec_lo, s12
.LBB2_925:                              ;   in Loop: Header=BB2_874 Depth=3
	s_and_not1_saveexec_b32 s10, s10
	s_cbranch_execz .LBB2_927
; %bb.926:                              ;   in Loop: Header=BB2_874 Depth=3
	s_waitcnt lgkmcnt(0)
	s_waitcnt_vscnt null, 0x0
	buffer_gl1_inv
	buffer_gl0_inv
	s_barrier
.LBB2_927:                              ;   in Loop: Header=BB2_874 Depth=3
	s_or_b32 exec_lo, exec_lo, s10
.LBB2_928:                              ;   in Loop: Header=BB2_874 Depth=3
	s_delay_alu instid0(SALU_CYCLE_1)
	s_or_b32 exec_lo, exec_lo, s5
	s_cbranch_execnz .LBB2_1585
; %bb.929:                              ;   in Loop: Header=BB2_874 Depth=3
	ds_load_b32 v8, v0
	v_and_b32_e32 v2, 0x4000, v30
	s_xor_b32 s5, s2, -1
	s_delay_alu instid0(VALU_DEP_1) | instskip(SKIP_1) | instid1(SALU_CYCLE_1)
	v_cmp_ne_u32_e32 vcc_lo, 0, v2
	s_and_b32 s10, s5, vcc_lo
	s_and_saveexec_b32 s5, s10
	s_cbranch_execz .LBB2_951
; %bb.930:                              ;   in Loop: Header=BB2_874 Depth=3
	s_and_saveexec_b32 s10, s4
	s_delay_alu instid0(SALU_CYCLE_1)
	s_xor_b32 s10, exec_lo, s10
	s_cbranch_execz .LBB2_948
; %bb.931:                              ;   in Loop: Header=BB2_874 Depth=3
	s_and_saveexec_b32 s12, s1
	s_cbranch_execz .LBB2_947
; %bb.932:                              ;   in Loop: Header=BB2_874 Depth=3
	s_mov_b32 s14, exec_lo
	s_mov_b32 s13, exec_lo
	v_mbcnt_lo_u32_b32 v2, s14, 0
	s_waitcnt lgkmcnt(0)
	s_waitcnt_vscnt null, 0x0
	buffer_gl1_inv
	buffer_gl0_inv
	v_cmpx_eq_u32_e32 0, v2
	s_cbranch_execz .LBB2_934
; %bb.933:                              ;   in Loop: Header=BB2_874 Depth=3
	s_bcnt1_i32_b32 s14, s14
	s_delay_alu instid0(SALU_CYCLE_1)
	v_mov_b32_e32 v2, s14
	ds_add_u64 v0, v[2:3]
	s_cbranch_execnz .LBB2_1789
.LBB2_934:                              ;   in Loop: Header=BB2_874 Depth=3
	s_or_b32 exec_lo, exec_lo, s13
	s_cbranch_execnz .LBB2_1769
; %bb.935:                              ;   in Loop: Header=BB2_874 Depth=3
	ds_load_b64 v[9:10], v0
	v_add_co_u32 v12, vcc_lo, v12, v85
	v_add_co_ci_u32_e32 v13, vcc_lo, 0, v13, vcc_lo
	s_mov_b32 s13, exec_lo
	s_waitcnt lgkmcnt(0)
	s_delay_alu instid0(VALU_DEP_1)
	v_cmpx_lt_u64_e64 v[9:10], v[12:13]
	s_cbranch_execz .LBB2_946
; %bb.936:                              ;   in Loop: Header=BB2_874 Depth=3
	s_mov_b32 s14, 0
	s_mov_b32 s28, 0
                                        ; implicit-def: $sgpr15
                                        ; implicit-def: $sgpr20
	s_branch .LBB2_938
.LBB2_937:                              ;   in Loop: Header=BB2_938 Depth=4
	s_or_b32 exec_lo, exec_lo, s37
	s_delay_alu instid0(SALU_CYCLE_1) | instskip(NEXT) | instid1(SALU_CYCLE_1)
	s_and_b32 vcc_lo, exec_lo, vcc_lo
	s_or_b32 s14, vcc_lo, s14
	s_and_not1_b32 s15, s15, exec_lo
	s_and_b32 vcc_lo, s20, exec_lo
	s_delay_alu instid0(SALU_CYCLE_1)
	s_or_b32 s15, s15, vcc_lo
	s_and_not1_b32 exec_lo, exec_lo, s14
	s_cbranch_execz .LBB2_944
.LBB2_938:                              ;   Parent Loop BB2_51 Depth=1
                                        ;     Parent Loop BB2_872 Depth=2
                                        ;       Parent Loop BB2_874 Depth=3
                                        ; =>      This Inner Loop Header: Depth=4
	s_add_i32 s28, s28, 1
                                        ; implicit-def: $sgpr37
	s_delay_alu instid0(SALU_CYCLE_1) | instskip(SKIP_1) | instid1(SALU_CYCLE_1)
	s_cmpk_lg_i32 s28, 0x2710
	s_cselect_b32 s36, -1, 0
	s_and_b32 vcc_lo, exec_lo, s36
	s_cbranch_vccz .LBB2_942
.LBB2_939:                              ;   in Loop: Header=BB2_938 Depth=4
	s_and_not1_b32 s20, s20, exec_lo
	s_and_b32 s37, s37, exec_lo
	s_mov_b32 vcc_lo, -1
	s_or_b32 s20, s20, s37
	s_and_saveexec_b32 s37, s36
	s_cbranch_execz .LBB2_937
; %bb.940:                              ;   in Loop: Header=BB2_938 Depth=4
	s_sleep 1
	s_cbranch_execnz .LBB2_1857
; %bb.941:                              ;   in Loop: Header=BB2_938 Depth=4
	ds_load_b64 v[9:10], v0
	s_and_not1_b32 s20, s20, exec_lo
	s_waitcnt lgkmcnt(0)
	v_cmp_ge_u64_e32 vcc_lo, v[9:10], v[12:13]
	s_or_not1_b32 vcc_lo, vcc_lo, exec_lo
	s_branch .LBB2_937
.LBB2_942:                              ;   in Loop: Header=BB2_938 Depth=4
	s_cbranch_execnz .LBB2_1865
; %bb.943:                              ;   in Loop: Header=BB2_938 Depth=4
	ds_load_b64 v[9:10], v0
	s_and_not1_b32 s36, s36, exec_lo
	s_mov_b32 s28, 0
	s_mov_b32 s37, -1
	s_waitcnt lgkmcnt(0)
	flat_load_b32 v2, v[9:10] glc
	s_waitcnt vmcnt(0) lgkmcnt(0)
	buffer_gl1_inv
	buffer_gl0_inv
	v_cmp_eq_u32_e32 vcc_lo, 0, v2
	s_and_b32 vcc_lo, vcc_lo, exec_lo
	s_delay_alu instid0(SALU_CYCLE_1)
	s_or_b32 s36, s36, vcc_lo
	s_branch .LBB2_939
.LBB2_944:                              ;   in Loop: Header=BB2_874 Depth=3
	s_or_b32 exec_lo, exec_lo, s14
	s_and_saveexec_b32 s14, s15
	s_delay_alu instid0(SALU_CYCLE_1)
	s_xor_b32 s14, exec_lo, s14
	s_cbranch_execz .LBB2_946
; %bb.945:                              ;   in Loop: Header=BB2_874 Depth=3
	ds_store_b32 v0, v118
	s_cbranch_execnz .LBB2_1949
.LBB2_946:                              ;   in Loop: Header=BB2_874 Depth=3
	s_or_b32 exec_lo, exec_lo, s13
	;;#ASMSTART
	s_wakeup
	;;#ASMEND
.LBB2_947:                              ;   in Loop: Header=BB2_874 Depth=3
	s_or_b32 exec_lo, exec_lo, s12
.LBB2_948:                              ;   in Loop: Header=BB2_874 Depth=3
	s_and_not1_saveexec_b32 s10, s10
	s_cbranch_execz .LBB2_950
; %bb.949:                              ;   in Loop: Header=BB2_874 Depth=3
	s_waitcnt lgkmcnt(0)
	s_waitcnt_vscnt null, 0x0
	buffer_gl1_inv
	buffer_gl0_inv
	s_barrier
.LBB2_950:                              ;   in Loop: Header=BB2_874 Depth=3
	s_or_b32 exec_lo, exec_lo, s10
.LBB2_951:                              ;   in Loop: Header=BB2_874 Depth=3
	s_delay_alu instid0(SALU_CYCLE_1)
	s_or_b32 exec_lo, exec_lo, s5
	s_cbranch_execnz .LBB2_1643
; %bb.952:                              ;   in Loop: Header=BB2_874 Depth=3
	ds_load_b64 v[9:10], v0
	v_mov_b32_e32 v53, 0
	s_waitcnt lgkmcnt(0)
	v_cmp_eq_u64_e32 vcc_lo, 0, v[9:10]
	s_or_b32 s5, vcc_lo, vcc_lo
	s_delay_alu instid0(SALU_CYCLE_1)
	s_and_b32 vcc_lo, exec_lo, s5
	s_cbranch_vccnz .LBB2_1031
; %bb.953:                              ;   in Loop: Header=BB2_874 Depth=3
	v_cmp_eq_u32_e32 vcc_lo, 0, v8
	s_cbranch_execnz .LBB2_1709
; %bb.954:                              ;   in Loop: Header=BB2_874 Depth=3
	ds_load_b64 v[8:9], v0
	v_cndmask_b32_e32 v53, 0, v52, vcc_lo
	s_mov_b32 s5, -1
	s_delay_alu instid0(VALU_DEP_1)
	v_lshlrev_b32_e32 v2, 3, v53
	s_waitcnt lgkmcnt(0)
	v_cmp_ne_u64_e32 vcc_lo, 0, v[8:9]
	s_cbranch_vccz .LBB2_996
; %bb.955:                              ;   in Loop: Header=BB2_874 Depth=3
	s_and_saveexec_b32 s10, vcc_hi
	s_cbranch_execz .LBB2_957
; %bb.956:                              ;   in Loop: Header=BB2_874 Depth=3
	ds_load_b32 v8, v0 offset:720
	s_waitcnt lgkmcnt(0)
	v_and_b32_e32 v8, 15, v8
	s_delay_alu instid0(VALU_DEP_1)
	v_cmp_eq_u32_e32 vcc_lo, 0, v8
	s_or_not1_b32 s5, vcc_lo, exec_lo
.LBB2_957:                              ;   in Loop: Header=BB2_874 Depth=3
	s_or_b32 exec_lo, exec_lo, s10
	s_delay_alu instid0(SALU_CYCLE_1) | instskip(SKIP_1) | instid1(VALU_DEP_1)
	s_mov_b32 s10, exec_lo
	v_readlane_b32 s12, v42, 2
	s_and_b32 s12, s10, s12
	s_delay_alu instid0(SALU_CYCLE_1)
	s_mov_b32 exec_lo, s12
	s_cbranch_execz .LBB2_959
; %bb.958:                              ;   in Loop: Header=BB2_874 Depth=3
	ds_load_b32 v8, v0 offset:784
	s_waitcnt lgkmcnt(0)
	v_and_b32_e32 v8, 15, v8
	s_delay_alu instid0(VALU_DEP_1) | instskip(SKIP_3) | instid1(SALU_CYCLE_1)
	v_cmp_eq_u32_e32 vcc_lo, 0, v8
	s_and_b32 s12, s5, vcc_lo
	s_and_not1_b32 s5, s5, exec_lo
	s_and_b32 s12, s12, exec_lo
	s_or_b32 s5, s5, s12
.LBB2_959:                              ;   in Loop: Header=BB2_874 Depth=3
	s_or_b32 exec_lo, exec_lo, s10
	s_xor_b32 s5, s5, -1
	v_dual_mov_b32 v55, 0 :: v_dual_mov_b32 v66, v2
	v_cndmask_b32_e64 v8, 0, 1, s5
	;;#ASMSTART
	;;#ASMEND
	s_delay_alu instid0(VALU_DEP_1)
	v_cmp_ne_u32_e32 vcc_lo, 0, v8
	v_dual_mov_b32 v67, v87 :: v_dual_mov_b32 v8, v86
	s_mov_b32 s10, -1
	s_cbranch_vccnz .LBB2_979
; %bb.960:                              ;   in Loop: Header=BB2_874 Depth=3
	v_ashrrev_i32_e32 v8, 31, v2
	v_sub_nc_u32_e32 v55, v2, v0
	s_mov_b32 s5, exec_lo
	s_delay_alu instid0(VALU_DEP_2) | instskip(NEXT) | instid1(VALU_DEP_1)
	v_lshrrev_b32_e32 v8, 23, v8
	v_add_nc_u32_e32 v8, v2, v8
	s_delay_alu instid0(VALU_DEP_1) | instskip(SKIP_1) | instid1(VALU_DEP_2)
	v_and_b32_e32 v69, 0xfffffe00, v8
	v_ashrrev_i32_e32 v8, 9, v8
	v_sub_nc_u32_e32 v80, v2, v69
	s_delay_alu instid0(VALU_DEP_1) | instskip(NEXT) | instid1(VALU_DEP_1)
	v_cmp_lt_i32_e64 s13, 15, v80
	v_add_co_ci_u32_e64 v71, vcc_lo, v8, v116, s13
	v_cmpx_lt_i32_e32 15, v55
	s_cbranch_execz .LBB2_967
; %bb.961:                              ;   in Loop: Header=BB2_874 Depth=3
	s_cbranch_execnz .LBB2_1879
; %bb.962:                              ;   in Loop: Header=BB2_874 Depth=3
	ds_load_b64 v[66:67], v0
	ds_load_b128 v[8:11], v0
	s_mov_b32 s10, 0
	s_waitcnt lgkmcnt(1)
	v_add_co_u32 v66, vcc_lo, v66, v0
	v_add_co_ci_u32_e32 v67, vcc_lo, v67, v117, vcc_lo
	s_waitcnt lgkmcnt(0)
	v_add_co_u32 v70, vcc_lo, v8, v0
	v_add_co_ci_u32_e32 v81, vcc_lo, v9, v117, vcc_lo
	v_add_co_u32 v119, vcc_lo, v10, v0
	v_add_co_ci_u32_e32 v128, vcc_lo, v11, v117, vcc_lo
.LBB2_963:                              ;   Parent Loop BB2_51 Depth=1
                                        ;     Parent Loop BB2_872 Depth=2
                                        ;       Parent Loop BB2_874 Depth=3
                                        ; =>      This Loop Header: Depth=4
                                        ;           Child Loop BB2_964 Depth 5
	global_load_b128 v[8:11], v[66:67], off slc dlc
	s_mov_b64 s[14:15], 0
	s_mov_b32 s12, -1
.LBB2_964:                              ;   Parent Loop BB2_51 Depth=1
                                        ;     Parent Loop BB2_872 Depth=2
                                        ;       Parent Loop BB2_874 Depth=3
                                        ;         Parent Loop BB2_963 Depth=4
                                        ; =>        This Inner Loop Header: Depth=5
	s_cmp_eq_u32 s14, 0
	v_cndmask_b32_e64 v131, 0, 1, s12
	s_cselect_b32 vcc_lo, -1, 0
	s_cmp_eq_u32 s14, 1
	s_mov_b32 s12, 0
	s_cselect_b32 s14, -1, 0
	s_delay_alu instid0(SALU_CYCLE_1) | instskip(SKIP_1) | instid1(VALU_DEP_2)
	v_cndmask_b32_e64 v129, v70, v119, s14
	v_cndmask_b32_e64 v130, v81, v128, s14
	v_add_co_u32 v132, s15, 0x200, v129
	s_delay_alu instid0(VALU_DEP_1) | instskip(SKIP_1) | instid1(VALU_DEP_3)
	v_add_co_ci_u32_e64 v133, s15, 0, v130, s15
	v_cmp_ne_u32_e64 s15, 1, v131
	v_cndmask_b32_e64 v119, v119, v132, s14
	v_cndmask_b32_e32 v70, v70, v132, vcc_lo
	s_delay_alu instid0(VALU_DEP_4)
	v_cndmask_b32_e64 v128, v128, v133, s14
	v_cndmask_b32_e32 v81, v81, v133, vcc_lo
	s_and_b32 vcc_lo, exec_lo, s15
	s_mov_b64 s[14:15], 1
	s_waitcnt vmcnt(0)
	global_store_b128 v[129:130], v[8:11], off glc slc dlc
	s_cbranch_vccz .LBB2_964
; %bb.965:                              ;   in Loop: Header=BB2_963 Depth=4
	v_add_co_u32 v70, vcc_lo, v70, v97
	v_sub_nc_u32_e32 v55, v55, v96
	v_add_co_ci_u32_e32 v81, vcc_lo, v81, v101, vcc_lo
	v_add_co_u32 v119, vcc_lo, v119, v97
	v_add_co_ci_u32_e32 v128, vcc_lo, v128, v101, vcc_lo
	s_delay_alu instid0(VALU_DEP_4) | instskip(SKIP_1) | instid1(VALU_DEP_1)
	v_cmp_gt_i32_e32 vcc_lo, 16, v55
	v_add_co_u32 v66, s14, v103, v66
	v_add_co_ci_u32_e64 v67, s14, v112, v67, s14
	v_sub_nc_u32_e32 v71, v71, v85
	s_or_b32 s10, vcc_lo, s10
	s_delay_alu instid0(SALU_CYCLE_1)
	s_and_not1_b32 exec_lo, exec_lo, s10
	s_cbranch_execnz .LBB2_963
; %bb.966:                              ;   in Loop: Header=BB2_874 Depth=3
	s_or_b32 exec_lo, exec_lo, s10
.LBB2_967:                              ;   in Loop: Header=BB2_874 Depth=3
	s_delay_alu instid0(SALU_CYCLE_1) | instskip(SKIP_4) | instid1(VALU_DEP_2)
	s_or_b32 exec_lo, exec_lo, s5
	v_and_b32_e32 v9, 8, v2
	v_mov_b32_e32 v55, 0
	s_mov_b32 s10, 0
	s_mov_b32 s5, exec_lo
                                        ; implicit-def: $vgpr66
                                        ; implicit-def: $vgpr67
                                        ; implicit-def: $vgpr8
	v_cndmask_b32_e64 v70, v80, v9, s13
	s_delay_alu instid0(VALU_DEP_1)
	v_cmpx_ne_u32_e32 0, v70
	s_cbranch_execz .LBB2_978
; %bb.968:                              ;   in Loop: Header=BB2_874 Depth=3
	v_cmp_lt_i32_e32 vcc_lo, 0, v71
	v_ashrrev_i32_e32 v11, 31, v70
	v_sub_nc_u32_e32 v9, v80, v9
	s_mov_b32 s10, exec_lo
	v_cndmask_b32_e32 v8, 0, v85, vcc_lo
	s_delay_alu instid0(VALU_DEP_3) | instskip(NEXT) | instid1(VALU_DEP_3)
	v_lshrrev_b32_e32 v11, 23, v11
	v_cndmask_b32_e64 v9, 0, v9, s13
	s_delay_alu instid0(VALU_DEP_3) | instskip(NEXT) | instid1(VALU_DEP_3)
	v_sub_nc_u32_e32 v8, v8, v71
	v_add_nc_u32_e32 v11, v70, v11
	s_delay_alu instid0(VALU_DEP_3) | instskip(NEXT) | instid1(VALU_DEP_3)
	v_add_nc_u32_e32 v69, v9, v69
	v_lshl_add_u32 v8, v8, 5, v87
	s_delay_alu instid0(VALU_DEP_3) | instskip(SKIP_1) | instid1(VALU_DEP_3)
	v_and_b32_e32 v71, 0xfffffe00, v11
	v_ashrrev_i32_e32 v11, 9, v11
	v_ashrrev_i32_e32 v10, 31, v8
	s_delay_alu instid0(VALU_DEP_3) | instskip(NEXT) | instid1(VALU_DEP_2)
	v_sub_nc_u32_e32 v80, v70, v71
	v_lshrrev_b32_e32 v10, 27, v10
	s_delay_alu instid0(VALU_DEP_2) | instskip(NEXT) | instid1(VALU_DEP_2)
	v_cmp_lt_i32_e64 s13, 15, v80
	v_add_nc_u32_e32 v10, v8, v10
	s_delay_alu instid0(VALU_DEP_2) | instskip(NEXT) | instid1(VALU_DEP_2)
	v_add_co_ci_u32_e64 v11, vcc_lo, 0, v11, s13
	v_and_b32_e32 v55, 0xffffffe0, v10
	v_ashrrev_i32_e32 v10, 5, v10
	s_delay_alu instid0(VALU_DEP_2) | instskip(NEXT) | instid1(VALU_DEP_2)
	v_sub_nc_u32_e32 v81, v8, v55
	v_sub_nc_u32_e32 v119, v11, v10
	s_delay_alu instid0(VALU_DEP_2) | instskip(NEXT) | instid1(VALU_DEP_1)
	v_lshlrev_b32_e32 v8, 4, v81
	v_lshl_add_u32 v8, v10, 9, v8
	s_delay_alu instid0(VALU_DEP_1) | instskip(NEXT) | instid1(VALU_DEP_1)
	v_sub_nc_u32_e32 v55, v70, v8
	v_cmpx_lt_i32_e32 15, v55
	s_cbranch_execz .LBB2_975
; %bb.969:                              ;   in Loop: Header=BB2_874 Depth=3
	s_cbranch_execnz .LBB2_1917
; %bb.970:                              ;   in Loop: Header=BB2_874 Depth=3
	ds_load_b64 v[9:10], v0
	ds_load_b128 v[128:131], v0
	v_add_nc_u32_e32 v8, v8, v69
	s_mov_b32 s12, 0
	s_delay_alu instid0(VALU_DEP_1) | instskip(SKIP_2) | instid1(VALU_DEP_2)
	v_ashrrev_i32_e32 v11, 31, v8
	s_waitcnt lgkmcnt(1)
	v_add_co_u32 v66, vcc_lo, v9, v8
	v_add_co_ci_u32_e32 v67, vcc_lo, v10, v11, vcc_lo
	s_waitcnt lgkmcnt(0)
	v_add_co_u32 v128, vcc_lo, v128, v8
	v_add_co_ci_u32_e32 v129, vcc_lo, v129, v11, vcc_lo
	v_add_co_u32 v130, vcc_lo, v130, v8
	v_add_co_ci_u32_e32 v131, vcc_lo, v131, v11, vcc_lo
.LBB2_971:                              ;   Parent Loop BB2_51 Depth=1
                                        ;     Parent Loop BB2_872 Depth=2
                                        ;       Parent Loop BB2_874 Depth=3
                                        ; =>      This Loop Header: Depth=4
                                        ;           Child Loop BB2_972 Depth 5
	global_load_b128 v[8:11], v[66:67], off slc dlc
	s_mov_b64 s[14:15], 0
	s_mov_b32 s20, -1
.LBB2_972:                              ;   Parent Loop BB2_51 Depth=1
                                        ;     Parent Loop BB2_872 Depth=2
                                        ;       Parent Loop BB2_874 Depth=3
                                        ;         Parent Loop BB2_971 Depth=4
                                        ; =>        This Inner Loop Header: Depth=5
	s_cmp_eq_u32 s14, 0
	v_cndmask_b32_e64 v134, 0, 1, s20
	s_cselect_b32 vcc_lo, -1, 0
	s_cmp_eq_u32 s14, 1
	s_mov_b32 s20, 0
	s_cselect_b32 s14, -1, 0
	s_delay_alu instid0(SALU_CYCLE_1) | instskip(SKIP_1) | instid1(VALU_DEP_2)
	v_cndmask_b32_e64 v132, v128, v130, s14
	v_cndmask_b32_e64 v133, v129, v131, s14
	v_add_co_u32 v135, s15, 0x200, v132
	s_delay_alu instid0(VALU_DEP_1) | instskip(SKIP_1) | instid1(VALU_DEP_3)
	v_add_co_ci_u32_e64 v144, s15, 0, v133, s15
	v_cmp_ne_u32_e64 s15, 1, v134
	v_cndmask_b32_e64 v130, v130, v135, s14
	v_cndmask_b32_e32 v128, v128, v135, vcc_lo
	s_delay_alu instid0(VALU_DEP_4)
	v_cndmask_b32_e64 v131, v131, v144, s14
	v_cndmask_b32_e32 v129, v129, v144, vcc_lo
	s_and_b32 vcc_lo, exec_lo, s15
	s_mov_b64 s[14:15], 1
	s_waitcnt vmcnt(0)
	global_store_b128 v[132:133], v[8:11], off glc slc dlc
	s_cbranch_vccz .LBB2_972
; %bb.973:                              ;   in Loop: Header=BB2_971 Depth=4
	v_add_co_u32 v128, vcc_lo, v128, v97
	v_sub_nc_u32_e32 v55, v55, v96
	v_add_co_ci_u32_e32 v129, vcc_lo, v129, v101, vcc_lo
	v_add_co_u32 v130, vcc_lo, v130, v97
	v_add_co_ci_u32_e32 v131, vcc_lo, v131, v101, vcc_lo
	s_delay_alu instid0(VALU_DEP_4) | instskip(SKIP_1) | instid1(VALU_DEP_1)
	v_cmp_gt_i32_e32 vcc_lo, 16, v55
	v_add_co_u32 v66, s14, v103, v66
	v_add_co_ci_u32_e64 v67, s14, v112, v67, s14
	v_sub_nc_u32_e32 v119, v119, v85
	s_or_b32 s12, vcc_lo, s12
	s_delay_alu instid0(SALU_CYCLE_1)
	s_and_not1_b32 exec_lo, exec_lo, s12
	s_cbranch_execnz .LBB2_971
; %bb.974:                              ;   in Loop: Header=BB2_874 Depth=3
	s_or_b32 exec_lo, exec_lo, s12
.LBB2_975:                              ;   in Loop: Header=BB2_874 Depth=3
	s_delay_alu instid0(SALU_CYCLE_1) | instskip(SKIP_4) | instid1(VALU_DEP_2)
	s_or_b32 exec_lo, exec_lo, s10
	v_and_b32_e32 v9, 8, v70
	v_mov_b32_e32 v55, 0
	s_mov_b32 s10, 0
	s_mov_b32 s12, exec_lo
                                        ; implicit-def: $vgpr67
                                        ; implicit-def: $vgpr8
	v_cndmask_b32_e64 v66, v80, v9, s13
	s_delay_alu instid0(VALU_DEP_1)
	v_cmpx_ne_u32_e32 0, v66
	s_cbranch_execz .LBB2_977
; %bb.976:                              ;   in Loop: Header=BB2_874 Depth=3
	v_cmp_lt_i32_e32 vcc_lo, 0, v119
	v_sub_nc_u32_e32 v9, v80, v9
	s_mov_b32 s10, exec_lo
	v_cndmask_b32_e32 v8, 0, v85, vcc_lo
	s_delay_alu instid0(VALU_DEP_2) | instskip(NEXT) | instid1(VALU_DEP_2)
	v_cndmask_b32_e64 v9, 0, v9, s13
	v_sub_nc_u32_e32 v8, v8, v119
	s_delay_alu instid0(VALU_DEP_2) | instskip(NEXT) | instid1(VALU_DEP_2)
	v_add3_u32 v55, v71, v69, v9
	v_lshl_add_u32 v10, v8, 5, v81
	s_delay_alu instid0(VALU_DEP_1) | instskip(NEXT) | instid1(VALU_DEP_1)
	v_ashrrev_i32_e32 v8, 31, v10
	v_lshrrev_b32_e32 v8, 27, v8
	s_delay_alu instid0(VALU_DEP_1) | instskip(NEXT) | instid1(VALU_DEP_1)
	v_add_nc_u32_e32 v8, v10, v8
	v_and_b32_e32 v11, 0xffffffe0, v8
	v_ashrrev_i32_e32 v8, 5, v8
	s_delay_alu instid0(VALU_DEP_2)
	v_sub_nc_u32_e32 v67, v10, v11
.LBB2_977:                              ;   in Loop: Header=BB2_874 Depth=3
	s_or_b32 exec_lo, exec_lo, s12
	s_delay_alu instid0(SALU_CYCLE_1)
	s_and_b32 s10, s10, exec_lo
.LBB2_978:                              ;   in Loop: Header=BB2_874 Depth=3
	s_or_b32 exec_lo, exec_lo, s5
.LBB2_979:                              ;   in Loop: Header=BB2_874 Depth=3
	s_and_saveexec_b32 s5, s10
	s_cbranch_execz .LBB2_995
; %bb.980:                              ;   in Loop: Header=BB2_874 Depth=3
	v_ashrrev_i32_e32 v9, 31, v66
	v_lshlrev_b32_e32 v10, 3, v67
	s_mov_b32 s10, exec_lo
	s_delay_alu instid0(VALU_DEP_2) | instskip(NEXT) | instid1(VALU_DEP_1)
	v_lshrrev_b32_e32 v9, 24, v9
	v_add_nc_u32_e32 v9, v66, v9
	s_delay_alu instid0(VALU_DEP_1) | instskip(SKIP_2) | instid1(VALU_DEP_3)
	v_and_b32_e32 v69, 0xffffff00, v9
	v_ashrrev_i32_e32 v11, 8, v9
	v_lshl_add_u32 v9, v8, 8, v10
	v_sub_nc_u32_e32 v70, v66, v69
	s_delay_alu instid0(VALU_DEP_3) | instskip(NEXT) | instid1(VALU_DEP_3)
	v_sub_nc_u32_e32 v8, v11, v8
	v_sub_nc_u32_e32 v80, v66, v9
	s_delay_alu instid0(VALU_DEP_3) | instskip(NEXT) | instid1(VALU_DEP_1)
	v_cmp_lt_i32_e64 s13, 7, v70
	v_add_co_ci_u32_e64 v71, vcc_lo, 0, v8, s13
	s_delay_alu instid0(VALU_DEP_3)
	v_cmpx_lt_i32_e32 7, v80
	s_cbranch_execz .LBB2_987
; %bb.981:                              ;   in Loop: Header=BB2_874 Depth=3
	s_cbranch_execnz .LBB2_1875
; %bb.982:                              ;   in Loop: Header=BB2_874 Depth=3
	ds_load_b64 v[10:11], v0
	ds_load_b128 v[128:131], v0
	v_add_nc_u32_e32 v132, v9, v55
	s_mov_b32 s12, 0
	s_delay_alu instid0(VALU_DEP_1) | instskip(SKIP_2) | instid1(VALU_DEP_2)
	v_ashrrev_i32_e32 v133, 31, v132
	s_waitcnt lgkmcnt(1)
	v_add_co_u32 v8, vcc_lo, v10, v132
	v_add_co_ci_u32_e32 v9, vcc_lo, v11, v133, vcc_lo
	s_waitcnt lgkmcnt(0)
	v_add_co_u32 v81, vcc_lo, v128, v132
	v_add_co_ci_u32_e32 v119, vcc_lo, v129, v133, vcc_lo
	v_add_co_u32 v128, vcc_lo, v130, v132
	v_add_co_ci_u32_e32 v129, vcc_lo, v131, v133, vcc_lo
.LBB2_983:                              ;   Parent Loop BB2_51 Depth=1
                                        ;     Parent Loop BB2_872 Depth=2
                                        ;       Parent Loop BB2_874 Depth=3
                                        ; =>      This Loop Header: Depth=4
                                        ;           Child Loop BB2_984 Depth 5
	flat_load_b64 v[10:11], v[8:9] slc dlc
	s_mov_b64 s[14:15], 0
	s_mov_b32 s20, -1
.LBB2_984:                              ;   Parent Loop BB2_51 Depth=1
                                        ;     Parent Loop BB2_872 Depth=2
                                        ;       Parent Loop BB2_874 Depth=3
                                        ;         Parent Loop BB2_983 Depth=4
                                        ; =>        This Inner Loop Header: Depth=5
	s_cmp_eq_u32 s14, 0
	v_cndmask_b32_e64 v132, 0, 1, s20
	s_cselect_b32 vcc_lo, -1, 0
	s_cmp_eq_u32 s14, 1
	s_mov_b32 s20, 0
	s_cselect_b32 s14, -1, 0
	s_delay_alu instid0(SALU_CYCLE_1) | instskip(SKIP_1) | instid1(VALU_DEP_2)
	v_cndmask_b32_e64 v130, v81, v128, s14
	v_cndmask_b32_e64 v131, v119, v129, s14
	v_add_co_u32 v133, s15, 0x100, v130
	s_delay_alu instid0(VALU_DEP_1) | instskip(SKIP_1) | instid1(VALU_DEP_3)
	v_add_co_ci_u32_e64 v134, s15, 0, v131, s15
	v_cmp_ne_u32_e64 s15, 1, v132
	v_cndmask_b32_e64 v128, v128, v133, s14
	v_cndmask_b32_e32 v81, v81, v133, vcc_lo
	s_delay_alu instid0(VALU_DEP_4)
	v_cndmask_b32_e64 v129, v129, v134, s14
	v_cndmask_b32_e32 v119, v119, v134, vcc_lo
	s_and_b32 vcc_lo, exec_lo, s15
	s_mov_b64 s[14:15], 1
	s_waitcnt vmcnt(0) lgkmcnt(0)
	flat_store_b64 v[130:131], v[10:11] glc slc dlc
	s_cbranch_vccz .LBB2_984
; %bb.985:                              ;   in Loop: Header=BB2_983 Depth=4
	v_add_co_u32 v81, vcc_lo, v81, v102
	v_sub_nc_u32_e32 v80, v80, v98
	v_add_co_ci_u32_e32 v119, vcc_lo, v119, v113, vcc_lo
	v_add_co_u32 v128, vcc_lo, v128, v102
	v_add_co_ci_u32_e32 v129, vcc_lo, v129, v113, vcc_lo
	s_delay_alu instid0(VALU_DEP_4) | instskip(SKIP_1) | instid1(VALU_DEP_1)
	v_cmp_gt_i32_e32 vcc_lo, 8, v80
	v_add_co_u32 v8, s14, v114, v8
	v_add_co_ci_u32_e64 v9, s14, v115, v9, s14
	v_sub_nc_u32_e32 v71, v71, v85
	s_or_b32 s12, vcc_lo, s12
	s_delay_alu instid0(SALU_CYCLE_1)
	s_and_not1_b32 exec_lo, exec_lo, s12
	s_cbranch_execnz .LBB2_983
; %bb.986:                              ;   in Loop: Header=BB2_874 Depth=3
	s_or_b32 exec_lo, exec_lo, s12
.LBB2_987:                              ;   in Loop: Header=BB2_874 Depth=3
	s_delay_alu instid0(SALU_CYCLE_1) | instskip(SKIP_2) | instid1(VALU_DEP_1)
	s_or_b32 exec_lo, exec_lo, s10
	v_and_b32_e32 v8, 7, v66
	s_mov_b32 s10, exec_lo
	v_cndmask_b32_e64 v10, v70, v8, s13
	s_delay_alu instid0(VALU_DEP_1)
	v_cmpx_ne_u32_e32 0, v10
	s_cbranch_execz .LBB2_994
; %bb.988:                              ;   in Loop: Header=BB2_874 Depth=3
	v_cmp_lt_i32_e32 vcc_lo, 0, v71
	v_cndmask_b32_e32 v9, 0, v85, vcc_lo
	s_delay_alu instid0(VALU_DEP_1) | instskip(NEXT) | instid1(VALU_DEP_1)
	v_sub_nc_u32_e32 v9, v9, v71
	v_lshl_add_u32 v9, v9, 5, v67
	s_delay_alu instid0(VALU_DEP_1) | instskip(NEXT) | instid1(VALU_DEP_1)
	v_ashrrev_i32_e32 v11, 31, v9
	v_lshrrev_b32_e32 v11, 27, v11
	s_delay_alu instid0(VALU_DEP_1) | instskip(NEXT) | instid1(VALU_DEP_1)
	v_add_nc_u32_e32 v11, v9, v11
	v_and_b32_e32 v66, 0x1fffffe0, v11
	v_lshlrev_b32_e32 v11, 3, v11
	s_delay_alu instid0(VALU_DEP_2) | instskip(NEXT) | instid1(VALU_DEP_2)
	v_sub_nc_u32_e32 v9, v9, v66
	v_and_b32_e32 v11, 0xffffff00, v11
	s_delay_alu instid0(VALU_DEP_1) | instskip(NEXT) | instid1(VALU_DEP_1)
	v_lshl_add_u32 v9, v9, 3, v11
	v_sub_nc_u32_e32 v66, v10, v9
	s_delay_alu instid0(VALU_DEP_1)
	v_cmp_lt_i32_e32 vcc_lo, 7, v66
	s_and_b32 exec_lo, exec_lo, vcc_lo
	s_cbranch_execz .LBB2_994
; %bb.989:                              ;   in Loop: Header=BB2_874 Depth=3
	s_cbranch_execnz .LBB2_1911
; %bb.990:                              ;   in Loop: Header=BB2_874 Depth=3
	ds_load_b64 v[10:11], v0
	ds_load_b128 v[128:131], v0
	v_sub_nc_u32_e32 v8, v70, v8
	v_add_nc_u32_e32 v55, v69, v55
	s_mov_b32 s12, 0
	s_delay_alu instid0(VALU_DEP_2) | instskip(NEXT) | instid1(VALU_DEP_1)
	v_cndmask_b32_e64 v8, 0, v8, s13
	v_add3_u32 v69, v55, v8, v9
	s_delay_alu instid0(VALU_DEP_1) | instskip(SKIP_2) | instid1(VALU_DEP_2)
	v_ashrrev_i32_e32 v70, 31, v69
	s_waitcnt lgkmcnt(1)
	v_add_co_u32 v8, vcc_lo, v10, v69
	v_add_co_ci_u32_e32 v9, vcc_lo, v11, v70, vcc_lo
	s_waitcnt lgkmcnt(0)
	v_add_co_u32 v55, vcc_lo, v128, v69
	v_add_co_ci_u32_e32 v67, vcc_lo, v129, v70, vcc_lo
	v_add_co_u32 v69, vcc_lo, v130, v69
	v_add_co_ci_u32_e32 v70, vcc_lo, v131, v70, vcc_lo
	s_set_inst_prefetch_distance 0x1
.LBB2_991:                              ;   Parent Loop BB2_51 Depth=1
                                        ;     Parent Loop BB2_872 Depth=2
                                        ;       Parent Loop BB2_874 Depth=3
                                        ; =>      This Loop Header: Depth=4
                                        ;           Child Loop BB2_992 Depth 5
	flat_load_b64 v[10:11], v[8:9] slc dlc
	s_mov_b64 s[14:15], 0
	s_mov_b32 s13, -1
.LBB2_992:                              ;   Parent Loop BB2_51 Depth=1
                                        ;     Parent Loop BB2_872 Depth=2
                                        ;       Parent Loop BB2_874 Depth=3
                                        ;         Parent Loop BB2_991 Depth=4
                                        ; =>        This Inner Loop Header: Depth=5
	s_cmp_eq_u32 s14, 0
	v_cndmask_b32_e64 v71, 0, 1, s13
	s_cselect_b32 vcc_lo, -1, 0
	s_cmp_eq_u32 s14, 1
	s_cselect_b32 s13, -1, 0
	s_delay_alu instid0(SALU_CYCLE_1) | instskip(SKIP_1) | instid1(VALU_DEP_2)
	v_cndmask_b32_e64 v80, v55, v69, s13
	v_cndmask_b32_e64 v81, v67, v70, s13
	v_add_co_u32 v119, s14, 0x100, v80
	s_delay_alu instid0(VALU_DEP_1) | instskip(SKIP_1) | instid1(VALU_DEP_3)
	v_add_co_ci_u32_e64 v128, s14, 0, v81, s14
	v_cmp_ne_u32_e64 s14, 1, v71
	v_cndmask_b32_e64 v69, v69, v119, s13
	v_cndmask_b32_e32 v55, v55, v119, vcc_lo
	s_delay_alu instid0(VALU_DEP_4)
	v_cndmask_b32_e64 v70, v70, v128, s13
	v_cndmask_b32_e32 v67, v67, v128, vcc_lo
	s_mov_b32 s13, 0
	s_and_b32 vcc_lo, exec_lo, s14
	s_mov_b64 s[14:15], 1
	s_waitcnt vmcnt(0) lgkmcnt(0)
	flat_store_b64 v[80:81], v[10:11] glc slc dlc
	s_cbranch_vccz .LBB2_992
; %bb.993:                              ;   in Loop: Header=BB2_991 Depth=4
	v_add_co_u32 v55, vcc_lo, v55, v102
	v_sub_nc_u32_e32 v66, v66, v98
	v_add_co_ci_u32_e32 v67, vcc_lo, v67, v113, vcc_lo
	v_add_co_u32 v69, vcc_lo, v69, v102
	v_add_co_ci_u32_e32 v70, vcc_lo, v70, v113, vcc_lo
	s_delay_alu instid0(VALU_DEP_4) | instskip(SKIP_1) | instid1(VALU_DEP_1)
	v_cmp_gt_i32_e32 vcc_lo, 8, v66
	v_add_co_u32 v8, s13, v114, v8
	v_add_co_ci_u32_e64 v9, s13, v115, v9, s13
	s_or_b32 s12, vcc_lo, s12
	s_delay_alu instid0(SALU_CYCLE_1)
	s_and_not1_b32 exec_lo, exec_lo, s12
	s_cbranch_execnz .LBB2_991
.LBB2_994:                              ;   in Loop: Header=BB2_874 Depth=3
	s_set_inst_prefetch_distance 0x2
	s_or_b32 exec_lo, exec_lo, s10
.LBB2_995:                              ;   in Loop: Header=BB2_874 Depth=3
	s_delay_alu instid0(SALU_CYCLE_1)
	s_or_b32 exec_lo, exec_lo, s5
	s_mov_b32 s5, 0
.LBB2_996:                              ;   in Loop: Header=BB2_874 Depth=3
	s_delay_alu instid0(SALU_CYCLE_1)
	s_and_b32 vcc_lo, exec_lo, s5
	s_cbranch_vccz .LBB2_1031
; %bb.997:                              ;   in Loop: Header=BB2_874 Depth=3
	s_mov_b32 s5, -1
	s_and_saveexec_b32 s10, vcc_hi
	s_cbranch_execz .LBB2_999
; %bb.998:                              ;   in Loop: Header=BB2_874 Depth=3
	ds_load_b32 v8, v0 offset:720
	s_waitcnt lgkmcnt(0)
	v_and_b32_e32 v8, 15, v8
	s_delay_alu instid0(VALU_DEP_1)
	v_cmp_eq_u32_e32 vcc_lo, 0, v8
	s_or_not1_b32 s5, vcc_lo, exec_lo
.LBB2_999:                              ;   in Loop: Header=BB2_874 Depth=3
	s_or_b32 exec_lo, exec_lo, s10
	s_delay_alu instid0(SALU_CYCLE_1) | instskip(SKIP_1) | instid1(VALU_DEP_1)
	s_mov_b32 s10, exec_lo
	v_readlane_b32 s12, v42, 3
	s_and_b32 s12, s10, s12
	s_delay_alu instid0(SALU_CYCLE_1)
	s_mov_b32 exec_lo, s12
	s_cbranch_execz .LBB2_1001
; %bb.1000:                             ;   in Loop: Header=BB2_874 Depth=3
	ds_load_b32 v8, v0 offset:784
	s_waitcnt lgkmcnt(0)
	v_and_b32_e32 v8, 15, v8
	s_delay_alu instid0(VALU_DEP_1) | instskip(SKIP_3) | instid1(SALU_CYCLE_1)
	v_cmp_eq_u32_e32 vcc_lo, 0, v8
	s_and_b32 s12, s5, vcc_lo
	s_and_not1_b32 s5, s5, exec_lo
	s_and_b32 s12, s12, exec_lo
	s_or_b32 s5, s5, s12
.LBB2_1001:                             ;   in Loop: Header=BB2_874 Depth=3
	s_or_b32 exec_lo, exec_lo, s10
	s_xor_b32 s5, s5, -1
	v_mov_b32_e32 v10, 0
	v_cndmask_b32_e64 v8, 0, 1, s5
	;;#ASMSTART
	;;#ASMEND
	s_delay_alu instid0(VALU_DEP_1)
	v_cmp_ne_u32_e32 vcc_lo, 0, v8
	s_mov_b32 s10, -1
	s_cbranch_vccz .LBB2_1003
; %bb.1002:                             ;   in Loop: Header=BB2_874 Depth=3
	v_dual_mov_b32 v11, v87 :: v_dual_mov_b32 v8, v86
	s_branch .LBB2_1018
.LBB2_1003:                             ;   in Loop: Header=BB2_874 Depth=3
	v_ashrrev_i32_e32 v8, 31, v2
	s_mov_b32 s5, exec_lo
	s_delay_alu instid0(VALU_DEP_1) | instskip(NEXT) | instid1(VALU_DEP_1)
	v_lshrrev_b32_e32 v8, 22, v8
	v_add_nc_u32_e32 v8, v2, v8
	s_delay_alu instid0(VALU_DEP_1) | instskip(NEXT) | instid1(VALU_DEP_1)
	v_ashrrev_i32_e32 v55, 10, v8
	v_sub_nc_u32_e32 v66, v55, v86
	s_delay_alu instid0(VALU_DEP_1)
	v_cmpx_lt_i32_e32 0, v66
	s_cbranch_execz .LBB2_1008
; %bb.1004:                             ;   in Loop: Header=BB2_874 Depth=3
	s_cbranch_execnz .LBB2_1895
; %bb.1005:                             ;   in Loop: Header=BB2_874 Depth=3
	ds_load_b64 v[8:9], v0
	v_dual_mov_b32 v10, v34 :: v_dual_mov_b32 v11, v35
	s_mov_b32 s10, 0
.LBB2_1006:                             ;   Parent Loop BB2_51 Depth=1
                                        ;     Parent Loop BB2_872 Depth=2
                                        ;       Parent Loop BB2_874 Depth=3
                                        ; =>      This Inner Loop Header: Depth=4
	s_waitcnt lgkmcnt(0)
	s_delay_alu instid0(VALU_DEP_1) | instskip(NEXT) | instid1(VALU_DEP_2)
	v_add_co_u32 v69, vcc_lo, v8, v10
	v_add_co_ci_u32_e32 v70, vcc_lo, v9, v11, vcc_lo
	v_sub_nc_u32_e32 v66, v66, v85
	v_add_co_u32 v10, s13, v10, v99
	s_clause 0x1
	global_load_b128 v[128:131], v[69:70], off slc dlc
	global_load_b128 v[132:135], v[69:70], off offset:512 slc dlc
	v_add_co_ci_u32_e64 v11, s13, v11, v100, s13
	v_cmp_gt_i32_e32 vcc_lo, 1, v66
	s_waitcnt vmcnt(1)
	global_store_b128 v[69:70], v[128:131], off glc slc dlc
	s_waitcnt vmcnt(0)
	global_store_b128 v[69:70], v[132:135], off offset:512 glc slc dlc
	s_or_b32 s10, vcc_lo, s10
	s_delay_alu instid0(SALU_CYCLE_1)
	s_and_not1_b32 exec_lo, exec_lo, s10
	s_cbranch_execnz .LBB2_1006
; %bb.1007:                             ;   in Loop: Header=BB2_874 Depth=3
	s_or_b32 exec_lo, exec_lo, s10
.LBB2_1008:                             ;   in Loop: Header=BB2_874 Depth=3
	s_delay_alu instid0(SALU_CYCLE_1) | instskip(SKIP_3) | instid1(VALU_DEP_1)
	s_or_b32 exec_lo, exec_lo, s5
	v_dual_mov_b32 v10, 0 :: v_dual_lshlrev_b32 v55, 10, v55
	s_mov_b32 s10, 0
	s_mov_b32 s5, exec_lo
                                        ; implicit-def: $vgpr11
                                        ; implicit-def: $vgpr8
	v_cmpx_ne_u32_e64 v2, v55
	s_cbranch_execz .LBB2_1017
; %bb.1009:                             ;   in Loop: Header=BB2_874 Depth=3
	v_lshlrev_b32_e32 v8, 5, v66
	v_sub_nc_u32_e32 v10, v2, v55
	s_mov_b32 s10, exec_lo
	s_delay_alu instid0(VALU_DEP_2) | instskip(NEXT) | instid1(VALU_DEP_2)
	v_sub_nc_u32_e32 v8, v87, v8
	v_ashrrev_i32_e32 v11, 31, v10
	s_delay_alu instid0(VALU_DEP_2) | instskip(NEXT) | instid1(VALU_DEP_2)
	v_ashrrev_i32_e32 v9, 31, v8
	v_lshrrev_b32_e32 v11, 23, v11
	s_delay_alu instid0(VALU_DEP_2) | instskip(NEXT) | instid1(VALU_DEP_2)
	v_lshrrev_b32_e32 v9, 27, v9
	v_add_nc_u32_e32 v11, v10, v11
	s_delay_alu instid0(VALU_DEP_2) | instskip(NEXT) | instid1(VALU_DEP_2)
	v_add_nc_u32_e32 v9, v8, v9
	v_ashrrev_i32_e32 v70, 9, v11
	s_delay_alu instid0(VALU_DEP_2) | instskip(NEXT) | instid1(VALU_DEP_1)
	v_and_b32_e32 v66, 0xffffffe0, v9
	v_sub_nc_u32_e32 v67, v8, v66
	v_and_b32_e32 v66, 0xfffffe00, v11
	v_ashrrev_i32_e32 v8, 5, v9
	s_delay_alu instid0(VALU_DEP_3) | instskip(NEXT) | instid1(VALU_DEP_3)
	v_lshlrev_b32_e32 v9, 4, v67
	v_sub_nc_u32_e32 v69, v10, v66
	s_delay_alu instid0(VALU_DEP_2) | instskip(NEXT) | instid1(VALU_DEP_2)
	v_lshl_add_u32 v11, v8, 9, v9
	v_cmp_lt_i32_e32 vcc_lo, 15, v69
	s_delay_alu instid0(VALU_DEP_2) | instskip(SKIP_1) | instid1(VALU_DEP_1)
	v_sub_nc_u32_e32 v10, v10, v11
	v_add_co_ci_u32_e64 v9, s13, 0, v70, vcc_lo
	v_sub_nc_u32_e32 v70, v9, v8
	s_delay_alu instid0(VALU_DEP_3)
	v_cmpx_lt_i32_e32 15, v10
	s_cbranch_execz .LBB2_1014
; %bb.1010:                             ;   in Loop: Header=BB2_874 Depth=3
	s_cbranch_execnz .LBB2_1925
; %bb.1011:                             ;   in Loop: Header=BB2_874 Depth=3
	ds_load_b64 v[8:9], v0
	v_add_nc_u32_e32 v11, v11, v55
	s_mov_b32 s12, 0
	s_delay_alu instid0(VALU_DEP_1)
	v_ashrrev_i32_e32 v71, 31, v11
.LBB2_1012:                             ;   Parent Loop BB2_51 Depth=1
                                        ;     Parent Loop BB2_872 Depth=2
                                        ;       Parent Loop BB2_874 Depth=3
                                        ; =>      This Inner Loop Header: Depth=4
	s_waitcnt lgkmcnt(0)
	v_add_co_u32 v80, s13, v8, v11
	s_delay_alu instid0(VALU_DEP_1)
	v_add_co_ci_u32_e64 v81, s13, v9, v71, s13
	v_sub_nc_u32_e32 v10, v10, v96
	v_add_co_u32 v11, s14, v11, v103
	global_load_b128 v[128:131], v[80:81], off slc dlc
	v_sub_nc_u32_e32 v70, v70, v85
	v_cmp_gt_i32_e64 s13, 16, v10
	v_add_co_ci_u32_e64 v71, s14, v71, v112, s14
	s_delay_alu instid0(VALU_DEP_2)
	s_or_b32 s12, s13, s12
	s_waitcnt vmcnt(0)
	global_store_b128 v[80:81], v[128:131], off glc slc dlc
	s_and_not1_b32 exec_lo, exec_lo, s12
	s_cbranch_execnz .LBB2_1012
; %bb.1013:                             ;   in Loop: Header=BB2_874 Depth=3
	s_or_b32 exec_lo, exec_lo, s12
.LBB2_1014:                             ;   in Loop: Header=BB2_874 Depth=3
	s_delay_alu instid0(SALU_CYCLE_1) | instskip(SKIP_3) | instid1(VALU_DEP_1)
	s_or_b32 exec_lo, exec_lo, s10
	v_dual_mov_b32 v10, 0 :: v_dual_and_b32 v9, 8, v2
	s_mov_b32 s10, 0
	s_mov_b32 s12, exec_lo
                                        ; implicit-def: $vgpr11
                                        ; implicit-def: $vgpr8
	v_cndmask_b32_e32 v2, v69, v9, vcc_lo
	s_delay_alu instid0(VALU_DEP_1)
	v_cmpx_ne_u32_e32 0, v2
	s_cbranch_execz .LBB2_1016
; %bb.1015:                             ;   in Loop: Header=BB2_874 Depth=3
	v_cmp_lt_i32_e64 s13, 0, v70
	v_sub_nc_u32_e32 v9, v69, v9
	s_mov_b32 s10, exec_lo
	s_delay_alu instid0(VALU_DEP_2) | instskip(NEXT) | instid1(VALU_DEP_2)
	v_cndmask_b32_e64 v8, 0, v85, s13
	v_cndmask_b32_e32 v9, 0, v9, vcc_lo
	s_delay_alu instid0(VALU_DEP_2) | instskip(NEXT) | instid1(VALU_DEP_2)
	v_sub_nc_u32_e32 v8, v8, v70
	v_add3_u32 v10, v66, v55, v9
	s_delay_alu instid0(VALU_DEP_2) | instskip(NEXT) | instid1(VALU_DEP_1)
	v_lshl_add_u32 v11, v8, 5, v67
	v_ashrrev_i32_e32 v8, 31, v11
	s_delay_alu instid0(VALU_DEP_1) | instskip(NEXT) | instid1(VALU_DEP_1)
	v_lshrrev_b32_e32 v8, 27, v8
	v_add_nc_u32_e32 v8, v11, v8
	s_delay_alu instid0(VALU_DEP_1) | instskip(SKIP_1) | instid1(VALU_DEP_2)
	v_and_b32_e32 v67, 0xffffffe0, v8
	v_ashrrev_i32_e32 v8, 5, v8
	v_sub_nc_u32_e32 v11, v11, v67
.LBB2_1016:                             ;   in Loop: Header=BB2_874 Depth=3
	s_or_b32 exec_lo, exec_lo, s12
	s_delay_alu instid0(SALU_CYCLE_1)
	s_and_b32 s10, s10, exec_lo
.LBB2_1017:                             ;   in Loop: Header=BB2_874 Depth=3
	s_or_b32 exec_lo, exec_lo, s5
.LBB2_1018:                             ;   in Loop: Header=BB2_874 Depth=3
	s_and_saveexec_b32 s5, s10
	s_cbranch_execz .LBB2_1030
; %bb.1019:                             ;   in Loop: Header=BB2_874 Depth=3
	v_ashrrev_i32_e32 v9, 31, v2
	v_lshlrev_b32_e32 v66, 3, v11
	s_mov_b32 s10, exec_lo
	s_delay_alu instid0(VALU_DEP_2) | instskip(NEXT) | instid1(VALU_DEP_2)
	v_lshrrev_b32_e32 v9, 24, v9
	v_lshl_add_u32 v70, v8, 8, v66
	s_delay_alu instid0(VALU_DEP_2) | instskip(NEXT) | instid1(VALU_DEP_2)
	v_add_nc_u32_e32 v9, v2, v9
	v_sub_nc_u32_e32 v69, v2, v70
	s_delay_alu instid0(VALU_DEP_2) | instskip(SKIP_1) | instid1(VALU_DEP_2)
	v_and_b32_e32 v55, 0xffffff00, v9
	v_ashrrev_i32_e32 v9, 8, v9
	v_sub_nc_u32_e32 v66, v2, v55
	s_delay_alu instid0(VALU_DEP_2) | instskip(NEXT) | instid1(VALU_DEP_2)
	v_sub_nc_u32_e32 v8, v9, v8
	v_cmp_lt_i32_e32 vcc_lo, 7, v66
	s_delay_alu instid0(VALU_DEP_2)
	v_add_co_ci_u32_e64 v67, s13, 0, v8, vcc_lo
	v_cmpx_lt_i32_e32 7, v69
	s_cbranch_execz .LBB2_1024
; %bb.1020:                             ;   in Loop: Header=BB2_874 Depth=3
	s_cbranch_execnz .LBB2_1883
; %bb.1021:                             ;   in Loop: Header=BB2_874 Depth=3
	ds_load_b64 v[8:9], v0
	v_add_nc_u32_e32 v70, v70, v10
	s_mov_b32 s12, 0
	s_delay_alu instid0(VALU_DEP_1)
	v_ashrrev_i32_e32 v71, 31, v70
.LBB2_1022:                             ;   Parent Loop BB2_51 Depth=1
                                        ;     Parent Loop BB2_872 Depth=2
                                        ;       Parent Loop BB2_874 Depth=3
                                        ; =>      This Inner Loop Header: Depth=4
	s_waitcnt lgkmcnt(0)
	v_add_co_u32 v80, s13, v8, v70
	s_delay_alu instid0(VALU_DEP_1)
	v_add_co_ci_u32_e64 v81, s13, v9, v71, s13
	v_sub_nc_u32_e32 v69, v69, v98
	v_add_co_u32 v70, s14, v70, v114
	flat_load_b64 v[128:129], v[80:81] slc dlc
	v_sub_nc_u32_e32 v67, v67, v85
	v_cmp_gt_i32_e64 s13, 8, v69
	v_add_co_ci_u32_e64 v71, s14, v71, v115, s14
	s_delay_alu instid0(VALU_DEP_2)
	s_or_b32 s12, s13, s12
	s_waitcnt vmcnt(0) lgkmcnt(0)
	flat_store_b64 v[80:81], v[128:129] glc slc dlc
	s_and_not1_b32 exec_lo, exec_lo, s12
	s_cbranch_execnz .LBB2_1022
; %bb.1023:                             ;   in Loop: Header=BB2_874 Depth=3
	s_or_b32 exec_lo, exec_lo, s12
.LBB2_1024:                             ;   in Loop: Header=BB2_874 Depth=3
	s_delay_alu instid0(SALU_CYCLE_1) | instskip(SKIP_2) | instid1(VALU_DEP_1)
	s_or_b32 exec_lo, exec_lo, s10
	v_and_b32_e32 v8, 7, v2
	s_mov_b32 s10, exec_lo
	v_cndmask_b32_e32 v2, v66, v8, vcc_lo
	s_delay_alu instid0(VALU_DEP_1)
	v_cmpx_ne_u32_e32 0, v2
	s_cbranch_execz .LBB2_1029
; %bb.1025:                             ;   in Loop: Header=BB2_874 Depth=3
	v_cmp_lt_i32_e64 s13, 0, v67
	s_delay_alu instid0(VALU_DEP_1) | instskip(NEXT) | instid1(VALU_DEP_1)
	v_cndmask_b32_e64 v9, 0, v85, s13
	v_sub_nc_u32_e32 v9, v9, v67
	s_delay_alu instid0(VALU_DEP_1) | instskip(NEXT) | instid1(VALU_DEP_1)
	v_lshl_add_u32 v9, v9, 5, v11
	v_ashrrev_i32_e32 v11, 31, v9
	s_delay_alu instid0(VALU_DEP_1) | instskip(NEXT) | instid1(VALU_DEP_1)
	v_lshrrev_b32_e32 v11, 27, v11
	v_add_nc_u32_e32 v11, v9, v11
	s_delay_alu instid0(VALU_DEP_1) | instskip(SKIP_1) | instid1(VALU_DEP_2)
	v_and_b32_e32 v67, 0x1fffffe0, v11
	v_lshlrev_b32_e32 v11, 3, v11
	v_sub_nc_u32_e32 v9, v9, v67
	s_delay_alu instid0(VALU_DEP_2) | instskip(NEXT) | instid1(VALU_DEP_1)
	v_and_b32_e32 v11, 0xffffff00, v11
	v_lshl_add_u32 v11, v9, 3, v11
	s_delay_alu instid0(VALU_DEP_1) | instskip(NEXT) | instid1(VALU_DEP_1)
	v_sub_nc_u32_e32 v2, v2, v11
	v_cmp_lt_i32_e64 s13, 7, v2
	s_delay_alu instid0(VALU_DEP_1)
	s_and_b32 exec_lo, exec_lo, s13
	s_cbranch_execz .LBB2_1029
; %bb.1026:                             ;   in Loop: Header=BB2_874 Depth=3
	s_cbranch_execnz .LBB2_1921
; %bb.1027:                             ;   in Loop: Header=BB2_874 Depth=3
	v_sub_nc_u32_e32 v66, v66, v8
	ds_load_b64 v[8:9], v0
	v_add_nc_u32_e32 v10, v55, v10
	s_mov_b32 s12, 0
	v_cndmask_b32_e32 v55, 0, v66, vcc_lo
	s_delay_alu instid0(VALU_DEP_1) | instskip(NEXT) | instid1(VALU_DEP_1)
	v_add3_u32 v10, v10, v55, v11
	v_ashrrev_i32_e32 v11, 31, v10
.LBB2_1028:                             ;   Parent Loop BB2_51 Depth=1
                                        ;     Parent Loop BB2_872 Depth=2
                                        ;       Parent Loop BB2_874 Depth=3
                                        ; =>      This Inner Loop Header: Depth=4
	s_waitcnt lgkmcnt(0)
	v_add_co_u32 v66, vcc_lo, v8, v10
	s_delay_alu instid0(VALU_DEP_2)
	v_add_co_ci_u32_e32 v67, vcc_lo, v9, v11, vcc_lo
	v_sub_nc_u32_e32 v2, v2, v98
	v_add_co_u32 v10, s13, v10, v114
	flat_load_b64 v[69:70], v[66:67] slc dlc
	v_add_co_ci_u32_e64 v11, s13, v11, v115, s13
	v_cmp_gt_i32_e32 vcc_lo, 8, v2
	s_or_b32 s12, vcc_lo, s12
	s_waitcnt vmcnt(0) lgkmcnt(0)
	flat_store_b64 v[66:67], v[69:70] glc slc dlc
	s_and_not1_b32 exec_lo, exec_lo, s12
	s_cbranch_execnz .LBB2_1028
.LBB2_1029:                             ;   in Loop: Header=BB2_874 Depth=3
	s_or_b32 exec_lo, exec_lo, s10
.LBB2_1030:                             ;   in Loop: Header=BB2_874 Depth=3
	s_delay_alu instid0(SALU_CYCLE_1)
	s_or_b32 exec_lo, exec_lo, s5
.LBB2_1031:                             ;   in Loop: Header=BB2_874 Depth=3
	s_and_saveexec_b32 s5, s3
	s_cbranch_execz .LBB2_1053
; %bb.1032:                             ;   in Loop: Header=BB2_874 Depth=3
	s_and_saveexec_b32 s10, s4
	s_delay_alu instid0(SALU_CYCLE_1)
	s_xor_b32 s10, exec_lo, s10
	s_cbranch_execz .LBB2_1050
; %bb.1033:                             ;   in Loop: Header=BB2_874 Depth=3
	s_and_saveexec_b32 s12, s1
	s_cbranch_execz .LBB2_1049
; %bb.1034:                             ;   in Loop: Header=BB2_874 Depth=3
	s_mov_b32 s14, exec_lo
	s_mov_b32 s13, exec_lo
	v_mbcnt_lo_u32_b32 v2, s14, 0
	s_waitcnt lgkmcnt(0)
	s_waitcnt_vscnt null, 0x0
	buffer_gl1_inv
	buffer_gl0_inv
	v_cmpx_eq_u32_e32 0, v2
	s_cbranch_execz .LBB2_1036
; %bb.1035:                             ;   in Loop: Header=BB2_874 Depth=3
	s_bcnt1_i32_b32 s14, s14
	s_delay_alu instid0(SALU_CYCLE_1)
	v_mov_b32_e32 v2, s14
	ds_add_u64 v0, v[2:3]
	s_cbranch_execnz .LBB2_1869
.LBB2_1036:                             ;   in Loop: Header=BB2_874 Depth=3
	s_or_b32 exec_lo, exec_lo, s13
	s_cbranch_execnz .LBB2_1847
; %bb.1037:                             ;   in Loop: Header=BB2_874 Depth=3
	ds_load_b64 v[8:9], v0
	v_add_co_u32 v12, vcc_lo, v12, v85
	v_add_co_ci_u32_e32 v13, vcc_lo, 0, v13, vcc_lo
	s_mov_b32 s13, exec_lo
	s_waitcnt lgkmcnt(0)
	s_delay_alu instid0(VALU_DEP_1)
	v_cmpx_lt_u64_e64 v[8:9], v[12:13]
	s_cbranch_execz .LBB2_1048
; %bb.1038:                             ;   in Loop: Header=BB2_874 Depth=3
	s_mov_b32 s14, 0
	s_mov_b32 s28, 0
                                        ; implicit-def: $sgpr15
                                        ; implicit-def: $sgpr20
	s_branch .LBB2_1040
.LBB2_1039:                             ;   in Loop: Header=BB2_1040 Depth=4
	s_or_b32 exec_lo, exec_lo, s37
	s_delay_alu instid0(SALU_CYCLE_1) | instskip(NEXT) | instid1(SALU_CYCLE_1)
	s_and_b32 vcc_lo, exec_lo, vcc_lo
	s_or_b32 s14, vcc_lo, s14
	s_and_not1_b32 s15, s15, exec_lo
	s_and_b32 vcc_lo, s20, exec_lo
	s_delay_alu instid0(SALU_CYCLE_1)
	s_or_b32 s15, s15, vcc_lo
	s_and_not1_b32 exec_lo, exec_lo, s14
	s_cbranch_execz .LBB2_1046
.LBB2_1040:                             ;   Parent Loop BB2_51 Depth=1
                                        ;     Parent Loop BB2_872 Depth=2
                                        ;       Parent Loop BB2_874 Depth=3
                                        ; =>      This Inner Loop Header: Depth=4
	s_add_i32 s28, s28, 1
                                        ; implicit-def: $sgpr37
	s_delay_alu instid0(SALU_CYCLE_1) | instskip(SKIP_1) | instid1(SALU_CYCLE_1)
	s_cmpk_lg_i32 s28, 0x2710
	s_cselect_b32 s36, -1, 0
	s_and_b32 vcc_lo, exec_lo, s36
	s_cbranch_vccnz .LBB2_1043
; %bb.1041:                             ;   in Loop: Header=BB2_1040 Depth=4
	s_cbranch_execnz .LBB2_1909
; %bb.1042:                             ;   in Loop: Header=BB2_1040 Depth=4
	ds_load_b64 v[8:9], v0
	s_and_not1_b32 s36, s36, exec_lo
	s_mov_b32 s28, 0
	s_mov_b32 s37, -1
	s_waitcnt lgkmcnt(0)
	flat_load_b32 v2, v[8:9] glc
	s_waitcnt vmcnt(0) lgkmcnt(0)
	buffer_gl1_inv
	buffer_gl0_inv
	v_cmp_eq_u32_e32 vcc_lo, 0, v2
	s_and_b32 vcc_lo, vcc_lo, exec_lo
	s_delay_alu instid0(SALU_CYCLE_1)
	s_or_b32 s36, s36, vcc_lo
.LBB2_1043:                             ;   in Loop: Header=BB2_1040 Depth=4
	s_and_not1_b32 s20, s20, exec_lo
	s_and_b32 s37, s37, exec_lo
	s_mov_b32 vcc_lo, -1
	s_or_b32 s20, s20, s37
	s_and_saveexec_b32 s37, s36
	s_cbranch_execz .LBB2_1039
; %bb.1044:                             ;   in Loop: Header=BB2_1040 Depth=4
	s_sleep 1
	s_cbranch_execnz .LBB2_1901
; %bb.1045:                             ;   in Loop: Header=BB2_1040 Depth=4
	ds_load_b64 v[8:9], v0
	s_and_not1_b32 s20, s20, exec_lo
	s_waitcnt lgkmcnt(0)
	v_cmp_ge_u64_e32 vcc_lo, v[8:9], v[12:13]
	s_or_not1_b32 vcc_lo, vcc_lo, exec_lo
	s_branch .LBB2_1039
.LBB2_1046:                             ;   in Loop: Header=BB2_874 Depth=3
	s_or_b32 exec_lo, exec_lo, s14
	s_and_saveexec_b32 s14, s15
	s_delay_alu instid0(SALU_CYCLE_1)
	s_xor_b32 s14, exec_lo, s14
	s_cbranch_execz .LBB2_1048
; %bb.1047:                             ;   in Loop: Header=BB2_874 Depth=3
	ds_store_b32 v0, v118
	s_cbranch_execnz .LBB2_1955
.LBB2_1048:                             ;   in Loop: Header=BB2_874 Depth=3
	s_or_b32 exec_lo, exec_lo, s13
	;;#ASMSTART
	s_wakeup
	;;#ASMEND
.LBB2_1049:                             ;   in Loop: Header=BB2_874 Depth=3
	s_or_b32 exec_lo, exec_lo, s12
.LBB2_1050:                             ;   in Loop: Header=BB2_874 Depth=3
	s_and_not1_saveexec_b32 s10, s10
	s_cbranch_execz .LBB2_1052
; %bb.1051:                             ;   in Loop: Header=BB2_874 Depth=3
	s_waitcnt lgkmcnt(0)
	s_waitcnt_vscnt null, 0x0
	buffer_gl1_inv
	buffer_gl0_inv
	s_barrier
.LBB2_1052:                             ;   in Loop: Header=BB2_874 Depth=3
	s_or_b32 exec_lo, exec_lo, s10
.LBB2_1053:                             ;   in Loop: Header=BB2_874 Depth=3
	s_delay_alu instid0(SALU_CYCLE_1) | instskip(SKIP_1) | instid1(SALU_CYCLE_1)
	s_or_b32 exec_lo, exec_lo, s5
                                        ; implicit-def: $vgpr2
	s_and_saveexec_b32 s5, s7
	s_xor_b32 s5, exec_lo, s5
	s_cbranch_execz .LBB2_1057
; %bb.1054:                             ;   in Loop: Header=BB2_874 Depth=3
	v_and_b32_e32 v2, 16, v30
	v_cmp_lt_i32_e32 vcc_lo, 0, v53
	s_delay_alu instid0(VALU_DEP_2) | instskip(SKIP_1) | instid1(VALU_DEP_2)
	v_cmp_ne_u32_e64 s13, 0, v2
	v_and_b32_e32 v2, 16, v30
	s_and_b32 s12, s13, vcc_lo
	s_delay_alu instid0(SALU_CYCLE_1)
	s_and_saveexec_b32 s10, s12
	s_cbranch_execz .LBB2_1056
; %bb.1055:                             ;   in Loop: Header=BB2_874 Depth=3
	v_mov_b32_e32 v2, 1
	s_waitcnt lgkmcnt(0)
	s_waitcnt_vscnt null, 0x0
	buffer_gl1_inv
	buffer_gl0_inv
.LBB2_1056:                             ;   in Loop: Header=BB2_874 Depth=3
	s_or_b32 exec_lo, exec_lo, s10
.LBB2_1057:                             ;   in Loop: Header=BB2_874 Depth=3
	s_and_not1_saveexec_b32 s5, s5
	s_cbranch_execz .LBB2_1079
; %bb.1058:                             ;   in Loop: Header=BB2_874 Depth=3
	s_and_saveexec_b32 s10, s4
	s_delay_alu instid0(SALU_CYCLE_1)
	s_xor_b32 s10, exec_lo, s10
	s_cbranch_execz .LBB2_1076
; %bb.1059:                             ;   in Loop: Header=BB2_874 Depth=3
	s_and_saveexec_b32 s12, s1
	s_cbranch_execz .LBB2_1075
; %bb.1060:                             ;   in Loop: Header=BB2_874 Depth=3
	s_mov_b32 s14, exec_lo
	s_mov_b32 s13, exec_lo
	v_mbcnt_lo_u32_b32 v2, s14, 0
	;;#ASMSTART
	s_waitcnt lgkmcnt(0) vmcnt(0)
	;;#ASMEND
	s_delay_alu instid0(VALU_DEP_1)
	v_cmpx_eq_u32_e32 0, v2
	s_cbranch_execz .LBB2_1062
; %bb.1061:                             ;   in Loop: Header=BB2_874 Depth=3
	s_bcnt1_i32_b32 s14, s14
	s_delay_alu instid0(SALU_CYCLE_1)
	v_mov_b32_e32 v2, s14
	ds_add_u64 v0, v[2:3]
	s_cbranch_execnz .LBB2_1871
.LBB2_1062:                             ;   in Loop: Header=BB2_874 Depth=3
	s_or_b32 exec_lo, exec_lo, s13
	s_cbranch_execnz .LBB2_1851
; %bb.1063:                             ;   in Loop: Header=BB2_874 Depth=3
	ds_load_b64 v[8:9], v0
	v_add_co_u32 v12, vcc_lo, v12, v85
	v_add_co_ci_u32_e32 v13, vcc_lo, 0, v13, vcc_lo
	s_mov_b32 s13, exec_lo
	s_waitcnt lgkmcnt(0)
	s_delay_alu instid0(VALU_DEP_1)
	v_cmpx_lt_u64_e64 v[8:9], v[12:13]
	s_cbranch_execz .LBB2_1074
; %bb.1064:                             ;   in Loop: Header=BB2_874 Depth=3
	s_mov_b32 s14, 0
	s_mov_b32 s28, 0
                                        ; implicit-def: $sgpr15
                                        ; implicit-def: $sgpr20
	s_branch .LBB2_1066
.LBB2_1065:                             ;   in Loop: Header=BB2_1066 Depth=4
	s_or_b32 exec_lo, exec_lo, s37
	s_delay_alu instid0(SALU_CYCLE_1) | instskip(NEXT) | instid1(SALU_CYCLE_1)
	s_and_b32 vcc_lo, exec_lo, vcc_lo
	s_or_b32 s14, vcc_lo, s14
	s_and_not1_b32 s15, s15, exec_lo
	s_and_b32 vcc_lo, s20, exec_lo
	s_delay_alu instid0(SALU_CYCLE_1)
	s_or_b32 s15, s15, vcc_lo
	s_and_not1_b32 exec_lo, exec_lo, s14
	s_cbranch_execz .LBB2_1072
.LBB2_1066:                             ;   Parent Loop BB2_51 Depth=1
                                        ;     Parent Loop BB2_872 Depth=2
                                        ;       Parent Loop BB2_874 Depth=3
                                        ; =>      This Inner Loop Header: Depth=4
	s_add_i32 s28, s28, 1
                                        ; implicit-def: $sgpr37
	s_delay_alu instid0(SALU_CYCLE_1) | instskip(SKIP_1) | instid1(SALU_CYCLE_1)
	s_cmpk_lg_i32 s28, 0x2710
	s_cselect_b32 s36, -1, 0
	s_and_b32 vcc_lo, exec_lo, s36
	s_cbranch_vccnz .LBB2_1069
; %bb.1067:                             ;   in Loop: Header=BB2_1066 Depth=4
	s_cbranch_execnz .LBB2_1913
; %bb.1068:                             ;   in Loop: Header=BB2_1066 Depth=4
	ds_load_b64 v[8:9], v0
	s_and_not1_b32 s36, s36, exec_lo
	s_mov_b32 s28, 0
	s_mov_b32 s37, -1
	s_waitcnt lgkmcnt(0)
	s_waitcnt_vscnt null, 0x0
	flat_load_b32 v2, v[8:9] glc
	s_waitcnt vmcnt(0) lgkmcnt(0)
	buffer_gl1_inv
	buffer_gl0_inv
	v_cmp_eq_u32_e32 vcc_lo, 0, v2
	s_and_b32 vcc_lo, vcc_lo, exec_lo
	s_delay_alu instid0(SALU_CYCLE_1)
	s_or_b32 s36, s36, vcc_lo
.LBB2_1069:                             ;   in Loop: Header=BB2_1066 Depth=4
	s_and_not1_b32 s20, s20, exec_lo
	s_and_b32 s37, s37, exec_lo
	s_mov_b32 vcc_lo, -1
	s_or_b32 s20, s20, s37
	s_and_saveexec_b32 s37, s36
	s_cbranch_execz .LBB2_1065
; %bb.1070:                             ;   in Loop: Header=BB2_1066 Depth=4
	s_sleep 1
	s_cbranch_execnz .LBB2_1907
; %bb.1071:                             ;   in Loop: Header=BB2_1066 Depth=4
	ds_load_b64 v[8:9], v0
	s_and_not1_b32 s20, s20, exec_lo
	s_waitcnt lgkmcnt(0)
	v_cmp_ge_u64_e32 vcc_lo, v[8:9], v[12:13]
	s_or_not1_b32 vcc_lo, vcc_lo, exec_lo
	s_branch .LBB2_1065
.LBB2_1072:                             ;   in Loop: Header=BB2_874 Depth=3
	s_or_b32 exec_lo, exec_lo, s14
	s_and_saveexec_b32 s14, s15
	s_delay_alu instid0(SALU_CYCLE_1)
	s_xor_b32 s14, exec_lo, s14
	s_cbranch_execz .LBB2_1074
; %bb.1073:                             ;   in Loop: Header=BB2_874 Depth=3
	ds_store_b32 v0, v118
	s_cbranch_execnz .LBB2_1957
.LBB2_1074:                             ;   in Loop: Header=BB2_874 Depth=3
	s_or_b32 exec_lo, exec_lo, s13
	;;#ASMSTART
	s_wakeup
	;;#ASMEND
.LBB2_1075:                             ;   in Loop: Header=BB2_874 Depth=3
	s_or_b32 exec_lo, exec_lo, s12
.LBB2_1076:                             ;   in Loop: Header=BB2_874 Depth=3
	s_and_not1_saveexec_b32 s10, s10
	s_cbranch_execz .LBB2_1078
; %bb.1077:                             ;   in Loop: Header=BB2_874 Depth=3
	;;#ASMSTART
	s_waitcnt lgkmcnt(0) vmcnt(0)
	;;#ASMEND
	s_waitcnt lgkmcnt(0)
	s_waitcnt_vscnt null, 0x0
	s_barrier
.LBB2_1078:                             ;   in Loop: Header=BB2_874 Depth=3
	s_or_b32 exec_lo, exec_lo, s10
	v_and_b32_e32 v2, 16, v30
.LBB2_1079:                             ;   in Loop: Header=BB2_874 Depth=3
	s_or_b32 exec_lo, exec_lo, s5
	s_delay_alu instid0(VALU_DEP_1) | instskip(SKIP_1) | instid1(SALU_CYCLE_1)
	v_cmp_ne_u32_e32 vcc_lo, 0, v2
	s_xor_b32 s5, s6, -1
	s_and_b32 s10, vcc_lo, s5
	s_delay_alu instid0(SALU_CYCLE_1)
	s_and_saveexec_b32 s5, s10
	s_cbranch_execz .LBB2_1081
; %bb.1080:                             ;   in Loop: Header=BB2_874 Depth=3
	s_waitcnt lgkmcnt(0)
	s_waitcnt_vscnt null, 0x0
	flat_store_b32 v[26:27], v118
.LBB2_1081:                             ;   in Loop: Header=BB2_874 Depth=3
	s_or_b32 exec_lo, exec_lo, s5
	v_and_b32_e32 v2, 48, v30
	s_mov_b32 s5, exec_lo
	s_delay_alu instid0(VALU_DEP_1)
	v_cmpx_ne_u32_e32 0, v2
	s_cbranch_execz .LBB2_1083
; %bb.1082:                             ;   in Loop: Header=BB2_874 Depth=3
	v_add_co_u32 v22, vcc_lo, v22, 2
	v_add_co_ci_u32_e32 v23, vcc_lo, 0, v23, vcc_lo
	s_waitcnt lgkmcnt(0)
	s_waitcnt_vscnt null, 0x0
	flat_store_b64 v[20:21], v[22:23]
.LBB2_1083:                             ;   in Loop: Header=BB2_874 Depth=3
	s_or_b32 exec_lo, exec_lo, s5
	v_add_nc_u32_e32 v54, v52, v54
	s_xor_b32 s5, s34, -1
	v_mov_b32_e32 v2, s35
	s_mov_b32 s34, 0
	s_mov_b32 s35, 2
	v_cmp_ge_i32_e32 vcc_lo, v54, v68
	s_or_b32 s5, s5, vcc_lo
	s_delay_alu instid0(SALU_CYCLE_1) | instskip(NEXT) | instid1(SALU_CYCLE_1)
	s_and_b32 s5, exec_lo, s5
	s_or_b32 s31, s5, s31
	s_delay_alu instid0(SALU_CYCLE_1)
	s_and_not1_b32 exec_lo, exec_lo, s31
	s_cbranch_execnz .LBB2_874
; %bb.1084:                             ;   in Loop: Header=BB2_872 Depth=2
	s_or_b32 exec_lo, exec_lo, s31
.LBB2_1085:                             ;   in Loop: Header=BB2_872 Depth=2
	s_delay_alu instid0(SALU_CYCLE_1) | instskip(NEXT) | instid1(SALU_CYCLE_1)
	s_or_b32 exec_lo, exec_lo, s30
	s_mov_b32 s10, exec_lo
	v_cmpx_gt_i32_e32 2, v2
	s_cbranch_execz .LBB2_1169
; %bb.1086:                             ;   in Loop: Header=BB2_872 Depth=2
	v_cmp_eq_u32_e64 s5, 0, v2
	s_mov_b32 s12, 0
.LBB2_1087:                             ;   Parent Loop BB2_51 Depth=1
                                        ;     Parent Loop BB2_872 Depth=2
                                        ; =>    This Loop Header: Depth=3
                                        ;         Child Loop BB2_1093 Depth 4
                                        ;         Child Loop BB2_1123 Depth 4
	;; [unrolled: 1-line block ×3, first 2 shown]
	v_and_b32_e32 v2, 12, v30
	s_mov_b32 s14, -1
	s_mov_b32 s13, exec_lo
	s_delay_alu instid0(VALU_DEP_1)
	v_cmpx_ne_u32_e32 0, v2
	s_cbranch_execz .LBB2_1101
; %bb.1088:                             ;   in Loop: Header=BB2_1087 Depth=3
	v_and_b32_e32 v2, 8, v30
	s_delay_alu instid0(VALU_DEP_1) | instskip(SKIP_3) | instid1(VALU_DEP_1)
	v_add_co_u32 v10, vcc_lo, v28, v2
	v_add_co_ci_u32_e32 v11, vcc_lo, 0, v29, vcc_lo
	v_add_co_u32 v8, vcc_lo, v22, 2
	v_add_co_ci_u32_e32 v9, vcc_lo, 0, v23, vcc_lo
	v_cmp_lt_u64_e32 vcc_lo, v[10:11], v[8:9]
	v_mov_b32_e32 v10, 1
	s_and_saveexec_b32 s14, vcc_lo
	s_cbranch_execz .LBB2_1100
; %bb.1089:                             ;   in Loop: Header=BB2_1087 Depth=3
	v_mov_b32_e32 v10, 0
	s_mov_b32 s15, 0
                                        ; implicit-def: $sgpr20
	s_branch .LBB2_1093
.LBB2_1090:                             ;   in Loop: Header=BB2_1093 Depth=4
	s_or_b32 exec_lo, exec_lo, s34
	v_mov_b32_e32 v11, 0
	s_or_not1_b32 s31, s31, exec_lo
.LBB2_1091:                             ;   in Loop: Header=BB2_1093 Depth=4
	s_or_b32 exec_lo, exec_lo, s30
	s_delay_alu instid0(VALU_DEP_1) | instskip(SKIP_2) | instid1(SALU_CYCLE_1)
	v_mov_b32_e32 v10, v11
	s_and_not1_b32 s20, s20, exec_lo
	s_and_b32 vcc_lo, s31, exec_lo
	s_or_b32 s20, s20, vcc_lo
.LBB2_1092:                             ;   in Loop: Header=BB2_1093 Depth=4
	s_or_b32 exec_lo, exec_lo, s28
	s_waitcnt vmcnt(0) lgkmcnt(0)
	v_add_co_u32 v64, vcc_lo, v28, v2
	v_add_co_ci_u32_e32 v65, vcc_lo, 0, v29, vcc_lo
	s_xor_b32 s28, s20, -1
	s_delay_alu instid0(VALU_DEP_1) | instskip(SKIP_1) | instid1(SALU_CYCLE_1)
	v_cmp_ge_u64_e32 vcc_lo, v[64:65], v[8:9]
	s_or_b32 s28, s28, vcc_lo
	s_and_b32 s28, exec_lo, s28
	s_delay_alu instid0(SALU_CYCLE_1) | instskip(NEXT) | instid1(SALU_CYCLE_1)
	s_or_b32 s15, s28, s15
	s_and_not1_b32 exec_lo, exec_lo, s15
	s_cbranch_execz .LBB2_1099
.LBB2_1093:                             ;   Parent Loop BB2_51 Depth=1
                                        ;     Parent Loop BB2_872 Depth=2
                                        ;       Parent Loop BB2_1087 Depth=3
                                        ; =>      This Inner Loop Header: Depth=4
	s_sleep 1
	flat_load_b64 v[28:29], v[20:21] glc
	v_and_b32_e32 v11, 64, v30
	s_and_not1_b32 s20, s20, exec_lo
	s_mov_b32 s28, exec_lo
	s_delay_alu instid0(VALU_DEP_1)
	v_cmpx_eq_u32_e32 0, v11
	s_cbranch_execz .LBB2_1092
; %bb.1094:                             ;   in Loop: Header=BB2_1093 Depth=4
	v_add_nc_u32_e32 v11, 1, v10
	s_mov_b32 s31, -1
	s_mov_b32 s30, exec_lo
	v_cmpx_lt_i32_e32 0x270e, v10
	s_cbranch_execz .LBB2_1091
; %bb.1095:                             ;   in Loop: Header=BB2_1093 Depth=4
	s_cbranch_execnz .LBB2_1615
; %bb.1096:                             ;   in Loop: Header=BB2_1093 Depth=4
	ds_load_b64 v[10:11], v0
	s_mov_b32 s34, exec_lo
	s_waitcnt vmcnt(0) lgkmcnt(0)
	s_waitcnt_vscnt null, 0x0
	flat_load_b32 v10, v[10:11] glc
	s_waitcnt vmcnt(0) lgkmcnt(0)
	buffer_gl1_inv
	buffer_gl0_inv
	v_cmpx_ne_u32_e32 0, v10
	s_cbranch_execz .LBB2_1090
; %bb.1097:                             ;   in Loop: Header=BB2_1093 Depth=4
	ds_store_b32 v0, v10
	s_cbranch_execnz .LBB2_1695
; %bb.1098:                             ;   in Loop: Header=BB2_1093 Depth=4
	v_or_b32_e32 v30, 64, v30
	s_xor_b32 s31, exec_lo, -1
	s_branch .LBB2_1090
.LBB2_1099:                             ;   in Loop: Header=BB2_1087 Depth=3
	s_or_b32 exec_lo, exec_lo, s15
	v_and_b32_e32 v10, 12, v30
.LBB2_1100:                             ;   in Loop: Header=BB2_1087 Depth=3
	s_or_b32 exec_lo, exec_lo, s14
	s_delay_alu instid0(VALU_DEP_1)
	v_cmp_eq_u32_e32 vcc_lo, 0, v10
	;;#ASMSTART
	s_wakeup
	;;#ASMEND
	s_or_not1_b32 s14, vcc_lo, exec_lo
.LBB2_1101:                             ;   in Loop: Header=BB2_1087 Depth=3
	s_or_b32 exec_lo, exec_lo, s13
	v_sub_nc_u32_e32 v2, v68, v54
	s_xor_b32 s5, s5, -1
	s_delay_alu instid0(SALU_CYCLE_1) | instskip(NEXT) | instid1(SALU_CYCLE_1)
	s_and_b32 s5, exec_lo, s5
	s_or_b32 s12, s5, s12
	s_delay_alu instid0(VALU_DEP_1) | instskip(SKIP_1) | instid1(SALU_CYCLE_1)
	v_min_i32_e32 v52, v52, v2
	s_xor_b32 s13, s14, -1
	s_and_saveexec_b32 s5, s13
	s_cbranch_execz .LBB2_1114
; %bb.1102:                             ;   in Loop: Header=BB2_1087 Depth=3
	v_and_b32_e32 v2, 0x108, v30
	s_delay_alu instid0(VALU_DEP_1) | instskip(SKIP_2) | instid1(SALU_CYCLE_1)
	v_cmp_ne_u32_e32 vcc_lo, 0x108, v2
	v_and_b32_e32 v2, 7, v22
	s_and_saveexec_b32 s13, vcc_lo
	s_xor_b32 s13, exec_lo, s13
	s_delay_alu instid0(SALU_CYCLE_1)
	s_and_not1_saveexec_b32 s13, s13
	s_cbranch_execz .LBB2_1104
; %bb.1103:                             ;   in Loop: Header=BB2_1087 Depth=3
	v_ashrrev_i32_e32 v53, 31, v52
	v_mad_u64_u32 v[8:9], null, v2, 24, v[6:7]
	s_delay_alu instid0(VALU_DEP_2)
	v_lshlrev_b64 v[10:11], 3, v[52:53]
	flat_store_b64 v[8:9], v[10:11] offset:8
.LBB2_1104:                             ;   in Loop: Header=BB2_1087 Depth=3
	s_or_b32 exec_lo, exec_lo, s13
	v_and_b32_e32 v8, 0x100, v30
	s_mov_b32 s13, -1
	s_delay_alu instid0(VALU_DEP_1)
	v_cmp_ne_u32_e32 vcc_lo, 0, v8
                                        ; implicit-def: $vgpr8_vgpr9
	s_and_saveexec_b32 s14, vcc_lo
	s_cbranch_execnz .LBB2_1107
; %bb.1105:                             ;   in Loop: Header=BB2_1087 Depth=3
	s_or_b32 exec_lo, exec_lo, s14
	s_and_saveexec_b32 s14, s13
	s_cbranch_execnz .LBB2_1110
.LBB2_1106:                             ;   in Loop: Header=BB2_1087 Depth=3
	s_or_b32 exec_lo, exec_lo, s14
	s_cbranch_execnz .LBB2_1605
	s_branch .LBB2_1111
.LBB2_1107:                             ;   in Loop: Header=BB2_1087 Depth=3
	v_mad_u64_u32 v[10:11], null, v2, 24, v[6:7]
	s_delay_alu instid0(VALU_DEP_1) | instskip(NEXT) | instid1(VALU_DEP_1)
	v_mov_b32_e32 v8, v11
	v_mad_u64_u32 v[64:65], null, v3, 24, v[8:9]
	s_delay_alu instid0(VALU_DEP_1) | instskip(SKIP_4) | instid1(VALU_DEP_1)
	v_mov_b32_e32 v11, v64
	flat_load_b32 v8, v[10:11]
	s_waitcnt vmcnt(0) lgkmcnt(0)
	v_cmp_ne_u32_e32 vcc_lo, 1, v8
	v_cmp_eq_u32_e64 s13, 1, v8
                                        ; implicit-def: $vgpr8_vgpr9
	s_and_saveexec_b32 s15, s13
	s_cbranch_execz .LBB2_1109
; %bb.1108:                             ;   in Loop: Header=BB2_1087 Depth=3
	flat_load_b32 v8, v[10:11] offset:4 glc
	s_waitcnt vmcnt(0) lgkmcnt(0)
	v_ashrrev_i32_e32 v9, 31, v8
	s_delay_alu instid0(VALU_DEP_1)
	v_lshrrev_b64 v[8:9], 3, v[8:9]
.LBB2_1109:                             ;   in Loop: Header=BB2_1087 Depth=3
	s_or_b32 exec_lo, exec_lo, s15
	s_delay_alu instid0(SALU_CYCLE_1)
	s_or_not1_b32 s13, vcc_lo, exec_lo
	s_or_b32 exec_lo, exec_lo, s14
	s_and_saveexec_b32 s14, s13
	s_cbranch_execz .LBB2_1106
.LBB2_1110:                             ;   in Loop: Header=BB2_1087 Depth=3
	v_mul_lo_u32 v10, v3, v83
	v_mul_lo_u32 v11, v2, v84
	v_mad_u64_u32 v[8:9], null, v2, v83, 0
	s_delay_alu instid0(VALU_DEP_1)
	v_add3_u32 v9, v9, v11, v10
	s_or_b32 exec_lo, exec_lo, s14
	s_cbranch_execnz .LBB2_1605
.LBB2_1111:                             ;   in Loop: Header=BB2_1087 Depth=3
	s_delay_alu instid0(VALU_DEP_1) | instskip(SKIP_2) | instid1(VALU_DEP_2)
	v_lshlrev_b64 v[8:9], 3, v[8:9]
	v_and_b32_e32 v2, 0x2000, v30
	s_mov_b32 s13, exec_lo
	v_add_co_u32 v8, vcc_lo, v24, v8
	s_delay_alu instid0(VALU_DEP_3)
	v_add_co_ci_u32_e32 v9, vcc_lo, v25, v9, vcc_lo
	ds_store_b64 v0, v[8:9]
	v_cmpx_ne_u32_e32 0, v2
	s_cbranch_execz .LBB2_1113
; %bb.1112:                             ;   in Loop: Header=BB2_1087 Depth=3
	ds_load_b64 v[8:9], v0 offset:584
	s_waitcnt lgkmcnt(0)
	v_add_co_u32 v8, vcc_lo, v8, 1
	v_add_co_ci_u32_e32 v9, vcc_lo, 0, v9, vcc_lo
	ds_store_b64 v0, v[8:9] offset:584
.LBB2_1113:                             ;   in Loop: Header=BB2_1087 Depth=3
	s_or_b32 exec_lo, exec_lo, s13
	v_add_co_u32 v22, vcc_lo, v22, 2
	v_add_co_ci_u32_e32 v23, vcc_lo, 0, v23, vcc_lo
.LBB2_1114:                             ;   in Loop: Header=BB2_1087 Depth=3
	s_or_b32 exec_lo, exec_lo, s5
	s_and_saveexec_b32 s5, s3
	s_cbranch_execz .LBB2_1136
; %bb.1115:                             ;   in Loop: Header=BB2_1087 Depth=3
	s_and_saveexec_b32 s13, s4
	s_delay_alu instid0(SALU_CYCLE_1)
	s_xor_b32 s13, exec_lo, s13
	s_cbranch_execz .LBB2_1133
; %bb.1116:                             ;   in Loop: Header=BB2_1087 Depth=3
	s_and_saveexec_b32 s14, s1
	s_cbranch_execz .LBB2_1132
; %bb.1117:                             ;   in Loop: Header=BB2_1087 Depth=3
	s_mov_b32 s20, exec_lo
	s_mov_b32 s15, exec_lo
	v_mbcnt_lo_u32_b32 v2, s20, 0
	s_waitcnt lgkmcnt(0)
	s_waitcnt_vscnt null, 0x0
	buffer_gl1_inv
	buffer_gl0_inv
	v_cmpx_eq_u32_e32 0, v2
	s_cbranch_execz .LBB2_1119
; %bb.1118:                             ;   in Loop: Header=BB2_1087 Depth=3
	s_bcnt1_i32_b32 s20, s20
	s_delay_alu instid0(SALU_CYCLE_1)
	v_mov_b32_e32 v2, s20
	ds_add_u64 v0, v[2:3]
	s_cbranch_execnz .LBB2_1751
.LBB2_1119:                             ;   in Loop: Header=BB2_1087 Depth=3
	s_or_b32 exec_lo, exec_lo, s15
	s_cbranch_execnz .LBB2_1721
; %bb.1120:                             ;   in Loop: Header=BB2_1087 Depth=3
	ds_load_b64 v[8:9], v0
	v_add_co_u32 v12, vcc_lo, v12, v85
	v_add_co_ci_u32_e32 v13, vcc_lo, 0, v13, vcc_lo
	s_mov_b32 s15, exec_lo
	s_waitcnt lgkmcnt(0)
	s_delay_alu instid0(VALU_DEP_1)
	v_cmpx_lt_u64_e64 v[8:9], v[12:13]
	s_cbranch_execz .LBB2_1131
; %bb.1121:                             ;   in Loop: Header=BB2_1087 Depth=3
	s_mov_b32 s20, 0
	s_mov_b32 s31, 0
                                        ; implicit-def: $sgpr28
                                        ; implicit-def: $sgpr30
	s_branch .LBB2_1123
.LBB2_1122:                             ;   in Loop: Header=BB2_1123 Depth=4
	s_or_b32 exec_lo, exec_lo, s35
	s_delay_alu instid0(SALU_CYCLE_1) | instskip(NEXT) | instid1(SALU_CYCLE_1)
	s_and_b32 vcc_lo, exec_lo, vcc_lo
	s_or_b32 s20, vcc_lo, s20
	s_and_not1_b32 s28, s28, exec_lo
	s_and_b32 vcc_lo, s30, exec_lo
	s_delay_alu instid0(SALU_CYCLE_1)
	s_or_b32 s28, s28, vcc_lo
	s_and_not1_b32 exec_lo, exec_lo, s20
	s_cbranch_execz .LBB2_1129
.LBB2_1123:                             ;   Parent Loop BB2_51 Depth=1
                                        ;     Parent Loop BB2_872 Depth=2
                                        ;       Parent Loop BB2_1087 Depth=3
                                        ; =>      This Inner Loop Header: Depth=4
	s_add_i32 s31, s31, 1
                                        ; implicit-def: $sgpr35
	s_delay_alu instid0(SALU_CYCLE_1) | instskip(SKIP_1) | instid1(SALU_CYCLE_1)
	s_cmpk_lg_i32 s31, 0x2710
	s_cselect_b32 s34, -1, 0
	s_and_b32 vcc_lo, exec_lo, s34
	s_cbranch_vccz .LBB2_1127
.LBB2_1124:                             ;   in Loop: Header=BB2_1123 Depth=4
	s_and_not1_b32 s30, s30, exec_lo
	s_and_b32 s35, s35, exec_lo
	s_mov_b32 vcc_lo, -1
	s_or_b32 s30, s30, s35
	s_and_saveexec_b32 s35, s34
	s_cbranch_execz .LBB2_1122
; %bb.1125:                             ;   in Loop: Header=BB2_1123 Depth=4
	s_sleep 1
	s_cbranch_execnz .LBB2_1801
; %bb.1126:                             ;   in Loop: Header=BB2_1123 Depth=4
	ds_load_b64 v[8:9], v0
	s_and_not1_b32 s30, s30, exec_lo
	s_waitcnt lgkmcnt(0)
	v_cmp_ge_u64_e32 vcc_lo, v[8:9], v[12:13]
	s_or_not1_b32 vcc_lo, vcc_lo, exec_lo
	s_branch .LBB2_1122
.LBB2_1127:                             ;   in Loop: Header=BB2_1123 Depth=4
	s_cbranch_execnz .LBB2_1821
; %bb.1128:                             ;   in Loop: Header=BB2_1123 Depth=4
	ds_load_b64 v[8:9], v0
	s_and_not1_b32 s34, s34, exec_lo
	s_mov_b32 s31, 0
	s_mov_b32 s35, -1
	s_waitcnt lgkmcnt(0)
	flat_load_b32 v2, v[8:9] glc
	s_waitcnt vmcnt(0) lgkmcnt(0)
	buffer_gl1_inv
	buffer_gl0_inv
	v_cmp_eq_u32_e32 vcc_lo, 0, v2
	s_and_b32 vcc_lo, vcc_lo, exec_lo
	s_delay_alu instid0(SALU_CYCLE_1)
	s_or_b32 s34, s34, vcc_lo
	s_branch .LBB2_1124
.LBB2_1129:                             ;   in Loop: Header=BB2_1087 Depth=3
	s_or_b32 exec_lo, exec_lo, s20
	s_and_saveexec_b32 s20, s28
	s_delay_alu instid0(SALU_CYCLE_1)
	s_xor_b32 s20, exec_lo, s20
	s_cbranch_execz .LBB2_1131
; %bb.1130:                             ;   in Loop: Header=BB2_1087 Depth=3
	ds_store_b32 v0, v118
	s_cbranch_execnz .LBB2_1935
.LBB2_1131:                             ;   in Loop: Header=BB2_1087 Depth=3
	s_or_b32 exec_lo, exec_lo, s15
	;;#ASMSTART
	s_wakeup
	;;#ASMEND
.LBB2_1132:                             ;   in Loop: Header=BB2_1087 Depth=3
	s_or_b32 exec_lo, exec_lo, s14
.LBB2_1133:                             ;   in Loop: Header=BB2_1087 Depth=3
	s_and_not1_saveexec_b32 s13, s13
	s_cbranch_execz .LBB2_1135
; %bb.1134:                             ;   in Loop: Header=BB2_1087 Depth=3
	s_waitcnt lgkmcnt(0)
	s_waitcnt_vscnt null, 0x0
	buffer_gl1_inv
	buffer_gl0_inv
	s_barrier
.LBB2_1135:                             ;   in Loop: Header=BB2_1087 Depth=3
	s_or_b32 exec_lo, exec_lo, s13
.LBB2_1136:                             ;   in Loop: Header=BB2_1087 Depth=3
	s_delay_alu instid0(SALU_CYCLE_1) | instskip(SKIP_1) | instid1(SALU_CYCLE_1)
	s_or_b32 exec_lo, exec_lo, s5
                                        ; implicit-def: $vgpr2
	s_and_saveexec_b32 s5, s7
	s_xor_b32 s5, exec_lo, s5
	s_cbranch_execz .LBB2_1141
; %bb.1137:                             ;   in Loop: Header=BB2_1087 Depth=3
	s_cbranch_execnz .LBB2_1637
; %bb.1138:                             ;   in Loop: Header=BB2_1087 Depth=3
	ds_load_b32 v2, v0
	v_cmp_lt_i32_e32 vcc_lo, 0, v52
	s_waitcnt lgkmcnt(0)
	v_readfirstlane_b32 s13, v2
	v_and_b32_e32 v2, 16, v30
	s_delay_alu instid0(VALU_DEP_2) | instskip(NEXT) | instid1(VALU_DEP_1)
	s_cmp_eq_u32 s13, 0
	v_cmp_ne_u32_e64 s13, 0, v2
	s_cselect_b32 s14, -1, 0
	v_and_b32_e32 v2, 16, v30
	s_and_b32 s14, vcc_lo, s14
	s_delay_alu instid0(VALU_DEP_2) | instid1(SALU_CYCLE_1)
	s_and_b32 s14, s13, s14
	s_delay_alu instid0(SALU_CYCLE_1)
	s_and_saveexec_b32 s13, s14
	s_cbranch_execz .LBB2_1140
; %bb.1139:                             ;   in Loop: Header=BB2_1087 Depth=3
	v_mov_b32_e32 v2, 1
	s_waitcnt_vscnt null, 0x0
	buffer_gl1_inv
	buffer_gl0_inv
.LBB2_1140:                             ;   in Loop: Header=BB2_1087 Depth=3
	s_or_b32 exec_lo, exec_lo, s13
.LBB2_1141:                             ;   in Loop: Header=BB2_1087 Depth=3
	s_and_not1_saveexec_b32 s5, s5
	s_cbranch_execz .LBB2_1163
; %bb.1142:                             ;   in Loop: Header=BB2_1087 Depth=3
	s_and_saveexec_b32 s13, s4
	s_delay_alu instid0(SALU_CYCLE_1)
	s_xor_b32 s13, exec_lo, s13
	s_cbranch_execz .LBB2_1160
; %bb.1143:                             ;   in Loop: Header=BB2_1087 Depth=3
	s_and_saveexec_b32 s14, s1
	s_cbranch_execz .LBB2_1159
; %bb.1144:                             ;   in Loop: Header=BB2_1087 Depth=3
	s_mov_b32 s20, exec_lo
	s_mov_b32 s15, exec_lo
	v_mbcnt_lo_u32_b32 v2, s20, 0
	;;#ASMSTART
	s_waitcnt lgkmcnt(0) vmcnt(0)
	;;#ASMEND
	s_delay_alu instid0(VALU_DEP_1)
	v_cmpx_eq_u32_e32 0, v2
	s_cbranch_execz .LBB2_1146
; %bb.1145:                             ;   in Loop: Header=BB2_1087 Depth=3
	s_bcnt1_i32_b32 s20, s20
	s_delay_alu instid0(SALU_CYCLE_1)
	v_mov_b32_e32 v2, s20
	ds_add_u64 v0, v[2:3]
	s_cbranch_execnz .LBB2_1773
.LBB2_1146:                             ;   in Loop: Header=BB2_1087 Depth=3
	s_or_b32 exec_lo, exec_lo, s15
	s_cbranch_execnz .LBB2_1749
; %bb.1147:                             ;   in Loop: Header=BB2_1087 Depth=3
	ds_load_b64 v[8:9], v0
	v_add_co_u32 v12, vcc_lo, v12, v85
	v_add_co_ci_u32_e32 v13, vcc_lo, 0, v13, vcc_lo
	s_mov_b32 s15, exec_lo
	s_waitcnt lgkmcnt(0)
	s_delay_alu instid0(VALU_DEP_1)
	v_cmpx_lt_u64_e64 v[8:9], v[12:13]
	s_cbranch_execz .LBB2_1158
; %bb.1148:                             ;   in Loop: Header=BB2_1087 Depth=3
	s_mov_b32 s20, 0
	s_mov_b32 s31, 0
                                        ; implicit-def: $sgpr28
                                        ; implicit-def: $sgpr30
	s_branch .LBB2_1150
.LBB2_1149:                             ;   in Loop: Header=BB2_1150 Depth=4
	s_or_b32 exec_lo, exec_lo, s35
	s_delay_alu instid0(SALU_CYCLE_1) | instskip(NEXT) | instid1(SALU_CYCLE_1)
	s_and_b32 vcc_lo, exec_lo, vcc_lo
	s_or_b32 s20, vcc_lo, s20
	s_and_not1_b32 s28, s28, exec_lo
	s_and_b32 vcc_lo, s30, exec_lo
	s_delay_alu instid0(SALU_CYCLE_1)
	s_or_b32 s28, s28, vcc_lo
	s_and_not1_b32 exec_lo, exec_lo, s20
	s_cbranch_execz .LBB2_1156
.LBB2_1150:                             ;   Parent Loop BB2_51 Depth=1
                                        ;     Parent Loop BB2_872 Depth=2
                                        ;       Parent Loop BB2_1087 Depth=3
                                        ; =>      This Inner Loop Header: Depth=4
	s_add_i32 s31, s31, 1
                                        ; implicit-def: $sgpr35
	s_delay_alu instid0(SALU_CYCLE_1) | instskip(SKIP_1) | instid1(SALU_CYCLE_1)
	s_cmpk_lg_i32 s31, 0x2710
	s_cselect_b32 s34, -1, 0
	s_and_b32 vcc_lo, exec_lo, s34
	s_cbranch_vccz .LBB2_1154
.LBB2_1151:                             ;   in Loop: Header=BB2_1150 Depth=4
	s_and_not1_b32 s30, s30, exec_lo
	s_and_b32 s35, s35, exec_lo
	s_mov_b32 vcc_lo, -1
	s_or_b32 s30, s30, s35
	s_and_saveexec_b32 s35, s34
	s_cbranch_execz .LBB2_1149
; %bb.1152:                             ;   in Loop: Header=BB2_1150 Depth=4
	s_sleep 1
	s_cbranch_execnz .LBB2_1833
; %bb.1153:                             ;   in Loop: Header=BB2_1150 Depth=4
	ds_load_b64 v[8:9], v0
	s_and_not1_b32 s30, s30, exec_lo
	s_waitcnt lgkmcnt(0)
	v_cmp_ge_u64_e32 vcc_lo, v[8:9], v[12:13]
	s_or_not1_b32 vcc_lo, vcc_lo, exec_lo
	s_branch .LBB2_1149
.LBB2_1154:                             ;   in Loop: Header=BB2_1150 Depth=4
	s_cbranch_execnz .LBB2_1845
; %bb.1155:                             ;   in Loop: Header=BB2_1150 Depth=4
	ds_load_b64 v[8:9], v0
	s_and_not1_b32 s34, s34, exec_lo
	s_mov_b32 s31, 0
	s_mov_b32 s35, -1
	s_waitcnt lgkmcnt(0)
	s_waitcnt_vscnt null, 0x0
	flat_load_b32 v2, v[8:9] glc
	s_waitcnt vmcnt(0) lgkmcnt(0)
	buffer_gl1_inv
	buffer_gl0_inv
	v_cmp_eq_u32_e32 vcc_lo, 0, v2
	s_and_b32 vcc_lo, vcc_lo, exec_lo
	s_delay_alu instid0(SALU_CYCLE_1)
	s_or_b32 s34, s34, vcc_lo
	s_branch .LBB2_1151
.LBB2_1156:                             ;   in Loop: Header=BB2_1087 Depth=3
	s_or_b32 exec_lo, exec_lo, s20
	s_and_saveexec_b32 s20, s28
	s_delay_alu instid0(SALU_CYCLE_1)
	s_xor_b32 s20, exec_lo, s20
	s_cbranch_execz .LBB2_1158
; %bb.1157:                             ;   in Loop: Header=BB2_1087 Depth=3
	ds_store_b32 v0, v118
	s_cbranch_execnz .LBB2_1945
.LBB2_1158:                             ;   in Loop: Header=BB2_1087 Depth=3
	s_or_b32 exec_lo, exec_lo, s15
	;;#ASMSTART
	s_wakeup
	;;#ASMEND
.LBB2_1159:                             ;   in Loop: Header=BB2_1087 Depth=3
	s_or_b32 exec_lo, exec_lo, s14
.LBB2_1160:                             ;   in Loop: Header=BB2_1087 Depth=3
	s_and_not1_saveexec_b32 s13, s13
	s_cbranch_execz .LBB2_1162
; %bb.1161:                             ;   in Loop: Header=BB2_1087 Depth=3
	;;#ASMSTART
	s_waitcnt lgkmcnt(0) vmcnt(0)
	;;#ASMEND
	s_waitcnt lgkmcnt(0)
	s_waitcnt_vscnt null, 0x0
	s_barrier
.LBB2_1162:                             ;   in Loop: Header=BB2_1087 Depth=3
	s_or_b32 exec_lo, exec_lo, s13
	v_and_b32_e32 v2, 16, v30
.LBB2_1163:                             ;   in Loop: Header=BB2_1087 Depth=3
	s_or_b32 exec_lo, exec_lo, s5
	s_delay_alu instid0(VALU_DEP_1) | instskip(SKIP_1) | instid1(SALU_CYCLE_1)
	v_cmp_ne_u32_e32 vcc_lo, 0, v2
	s_xor_b32 s5, s6, -1
	s_and_b32 s13, vcc_lo, s5
	s_delay_alu instid0(SALU_CYCLE_1)
	s_and_saveexec_b32 s5, s13
	s_cbranch_execz .LBB2_1165
; %bb.1164:                             ;   in Loop: Header=BB2_1087 Depth=3
	s_waitcnt lgkmcnt(0)
	s_waitcnt_vscnt null, 0x0
	flat_store_b32 v[26:27], v118
.LBB2_1165:                             ;   in Loop: Header=BB2_1087 Depth=3
	s_or_b32 exec_lo, exec_lo, s5
	v_and_b32_e32 v2, 48, v30
	s_mov_b32 s5, exec_lo
	s_delay_alu instid0(VALU_DEP_1)
	v_cmpx_ne_u32_e32 0, v2
	s_cbranch_execz .LBB2_1167
; %bb.1166:                             ;   in Loop: Header=BB2_1087 Depth=3
	v_add_co_u32 v22, vcc_lo, v22, 2
	v_add_co_ci_u32_e32 v23, vcc_lo, 0, v23, vcc_lo
	s_waitcnt lgkmcnt(0)
	s_waitcnt_vscnt null, 0x0
	flat_store_b64 v[20:21], v[22:23]
.LBB2_1167:                             ;   in Loop: Header=BB2_1087 Depth=3
	s_or_b32 exec_lo, exec_lo, s5
	v_add_nc_u32_e32 v54, v52, v54
	s_mov_b32 s5, 0
	s_and_not1_b32 exec_lo, exec_lo, s12
	s_cbranch_execnz .LBB2_1087
; %bb.1168:                             ;   in Loop: Header=BB2_872 Depth=2
	s_or_b32 exec_lo, exec_lo, s12
.LBB2_1169:                             ;   in Loop: Header=BB2_872 Depth=2
	s_delay_alu instid0(SALU_CYCLE_1) | instskip(SKIP_2) | instid1(VALU_DEP_2)
	s_or_b32 exec_lo, exec_lo, s10
	v_readlane_b32 s12, v42, 15
	v_readlane_b32 s10, v42, 9
	s_add_i32 s5, s12, 1
	s_delay_alu instid0(VALU_DEP_1)
	s_cmp_eq_u32 s12, s10
	s_cbranch_scc0 .LBB2_872
.LBB2_1170:                             ;   in Loop: Header=BB2_51 Depth=1
	v_readlane_b32 s5, v42, 8
	s_mov_b32 s10, s17
	s_mov_b32 s30, 0
	v_mul_lo_u32 v2, v39, s10
	v_mad_u64_u32 v[9:10], null, v38, s10, 0
	v_mul_lo_u32 v8, v38, s5
	s_delay_alu instid0(VALU_DEP_2) | instskip(NEXT) | instid1(VALU_DEP_2)
	v_sub_co_u32 v48, vcc_lo, v48, v9
	v_add3_u32 v10, v10, v8, v2
	s_delay_alu instid0(VALU_DEP_1) | instskip(NEXT) | instid1(VALU_DEP_1)
	v_sub_co_ci_u32_e32 v49, vcc_lo, v49, v10, vcc_lo
	v_cmp_lt_i64_e32 vcc_lo, v[38:39], v[48:49]
	v_cndmask_b32_e32 v8, v48, v38, vcc_lo
	s_delay_alu instid0(VALU_DEP_1) | instskip(SKIP_2) | instid1(VALU_DEP_3)
	v_max_i32_e32 v52, 0, v8
	v_cmp_lt_i32_e32 vcc_lo, 0, v8
	v_mov_b32_e32 v8, 0
	v_add_nc_u32_e32 v2, 31, v52
	s_and_b32 s5, s16, vcc_lo
	s_delay_alu instid0(VALU_DEP_1) | instskip(NEXT) | instid1(VALU_DEP_1)
	v_lshrrev_b32_e32 v2, 1, v2
	v_dual_mov_b32 v2, 0 :: v_dual_and_b32 v11, 0x3ffffff0, v2
	s_delay_alu instid0(VALU_DEP_1)
	v_max_i32_e32 v53, s25, v11
	s_and_saveexec_b32 s15, s5
	s_cbranch_execz .LBB2_1332
; %bb.1171:                             ;   in Loop: Header=BB2_51 Depth=1
	v_add_co_u32 v8, vcc_lo, v9, v50
	v_add_co_ci_u32_e32 v9, vcc_lo, v10, v51, vcc_lo
	s_mov_b32 s34, 1
	s_mov_b32 s31, -1
	s_delay_alu instid0(VALU_DEP_1)
	v_lshlrev_b64 v[10:11], 3, v[8:9]
	v_mov_b32_e32 v8, 0
.LBB2_1172:                             ;   Parent Loop BB2_51 Depth=1
                                        ; =>  This Loop Header: Depth=2
                                        ;       Child Loop BB2_1181 Depth 3
                                        ;       Child Loop BB2_1208 Depth 3
	;; [unrolled: 1-line block ×9, first 2 shown]
	s_and_saveexec_b32 s5, s0
	s_cbranch_execz .LBB2_1175
; %bb.1173:                             ;   in Loop: Header=BB2_1172 Depth=2
	s_cbranch_execnz .LBB2_1587
; %bb.1174:                             ;   in Loop: Header=BB2_1172 Depth=2
	ds_load_b128 v[48:51], v0
	v_ashrrev_i32_e32 v9, 31, v8
	s_delay_alu instid0(VALU_DEP_1)
	v_lshlrev_b64 v[54:55], 3, v[8:9]
	s_waitcnt lgkmcnt(0)
	v_add_co_u32 v2, vcc_lo, v50, v10
	v_add_co_ci_u32_e32 v9, vcc_lo, v51, v11, vcc_lo
	v_add_co_u32 v48, vcc_lo, v48, v10
	v_add_co_ci_u32_e32 v49, vcc_lo, v49, v11, vcc_lo
	s_delay_alu instid0(VALU_DEP_4) | instskip(NEXT) | instid1(VALU_DEP_4)
	v_add_co_u32 v2, vcc_lo, v2, v54
	v_add_co_ci_u32_e32 v9, vcc_lo, v9, v55, vcc_lo
	v_cmp_ne_u64_e32 vcc_lo, 0, v[50:51]
	v_add_co_u32 v48, s13, v48, v54
	s_delay_alu instid0(VALU_DEP_1) | instskip(NEXT) | instid1(VALU_DEP_4)
	v_add_co_ci_u32_e64 v49, s13, v49, v55, s13
	v_dual_cndmask_b32 v51, 0, v9 :: v_dual_cndmask_b32 v50, 0, v2
	ds_store_b64 v0, v[48:49]
	ds_store_b64 v0, v[50:51]
.LBB2_1175:                             ;   in Loop: Header=BB2_1172 Depth=2
	s_or_b32 exec_lo, exec_lo, s5
	v_and_b32_e32 v2, 4, v30
	s_mov_b32 s10, -1
	s_mov_b32 s5, exec_lo
	s_delay_alu instid0(VALU_DEP_1)
	v_cmpx_ne_u32_e32 0, v2
	s_cbranch_execz .LBB2_1189
; %bb.1176:                             ;   in Loop: Header=BB2_1172 Depth=2
	v_add_co_u32 v48, vcc_lo, v22, 2
	v_add_co_ci_u32_e32 v49, vcc_lo, 0, v23, vcc_lo
	v_mov_b32_e32 v2, 1
	s_mov_b32 s10, exec_lo
	s_delay_alu instid0(VALU_DEP_2)
	v_cmpx_lt_u64_e64 v[28:29], v[48:49]
	s_cbranch_execz .LBB2_1188
; %bb.1177:                             ;   in Loop: Header=BB2_1172 Depth=2
	v_mov_b32_e32 v2, 0
	s_mov_b32 s12, 0
                                        ; implicit-def: $sgpr13
	s_branch .LBB2_1181
.LBB2_1178:                             ;   in Loop: Header=BB2_1181 Depth=3
	s_or_b32 exec_lo, exec_lo, s35
	v_mov_b32_e32 v9, 0
	s_or_not1_b32 s28, s28, exec_lo
.LBB2_1179:                             ;   in Loop: Header=BB2_1181 Depth=3
	s_or_b32 exec_lo, exec_lo, s20
	s_delay_alu instid0(VALU_DEP_1) | instskip(SKIP_2) | instid1(SALU_CYCLE_1)
	v_mov_b32_e32 v2, v9
	s_and_not1_b32 s13, s13, exec_lo
	s_and_b32 s20, s28, exec_lo
	s_or_b32 s13, s13, s20
.LBB2_1180:                             ;   in Loop: Header=BB2_1181 Depth=3
	s_or_b32 exec_lo, exec_lo, s14
	s_waitcnt vmcnt(0) lgkmcnt(0)
	v_cmp_ge_u64_e32 vcc_lo, v[28:29], v[48:49]
	s_xor_b32 s14, s13, -1
	s_delay_alu instid0(SALU_CYCLE_1) | instskip(NEXT) | instid1(SALU_CYCLE_1)
	s_or_b32 s14, s14, vcc_lo
	s_and_b32 s14, exec_lo, s14
	s_delay_alu instid0(SALU_CYCLE_1) | instskip(NEXT) | instid1(SALU_CYCLE_1)
	s_or_b32 s12, s14, s12
	s_and_not1_b32 exec_lo, exec_lo, s12
	s_cbranch_execz .LBB2_1187
.LBB2_1181:                             ;   Parent Loop BB2_51 Depth=1
                                        ;     Parent Loop BB2_1172 Depth=2
                                        ; =>    This Inner Loop Header: Depth=3
	s_sleep 1
	flat_load_b64 v[28:29], v[20:21] glc
	v_and_b32_e32 v9, 64, v30
	s_and_not1_b32 s13, s13, exec_lo
	s_mov_b32 s14, exec_lo
	s_delay_alu instid0(VALU_DEP_1)
	v_cmpx_eq_u32_e32 0, v9
	s_cbranch_execz .LBB2_1180
; %bb.1182:                             ;   in Loop: Header=BB2_1181 Depth=3
	v_add_nc_u32_e32 v9, 1, v2
	s_mov_b32 s28, -1
	s_mov_b32 s20, exec_lo
	v_cmpx_lt_i32_e32 0x270e, v2
	s_cbranch_execz .LBB2_1179
; %bb.1183:                             ;   in Loop: Header=BB2_1181 Depth=3
	s_cbranch_execnz .LBB2_1633
; %bb.1184:                             ;   in Loop: Header=BB2_1181 Depth=3
	ds_load_b64 v[50:51], v0
	s_mov_b32 s35, exec_lo
	s_waitcnt vmcnt(0) lgkmcnt(0)
	s_waitcnt_vscnt null, 0x0
	flat_load_b32 v2, v[50:51] glc
	s_waitcnt vmcnt(0) lgkmcnt(0)
	buffer_gl1_inv
	buffer_gl0_inv
	v_cmpx_ne_u32_e32 0, v2
	s_cbranch_execz .LBB2_1178
; %bb.1185:                             ;   in Loop: Header=BB2_1181 Depth=3
	ds_store_b32 v0, v2
	s_cbranch_execnz .LBB2_1703
; %bb.1186:                             ;   in Loop: Header=BB2_1181 Depth=3
	v_or_b32_e32 v30, 64, v30
	s_xor_b32 s28, exec_lo, -1
	s_branch .LBB2_1178
.LBB2_1187:                             ;   in Loop: Header=BB2_1172 Depth=2
	s_or_b32 exec_lo, exec_lo, s12
	v_and_b32_e32 v2, 4, v30
.LBB2_1188:                             ;   in Loop: Header=BB2_1172 Depth=2
	s_or_b32 exec_lo, exec_lo, s10
	s_delay_alu instid0(VALU_DEP_1)
	v_cmp_eq_u32_e32 vcc_lo, 0, v2
	;;#ASMSTART
	s_wakeup
	;;#ASMEND
	s_or_not1_b32 s10, vcc_lo, exec_lo
.LBB2_1189:                             ;   in Loop: Header=BB2_1172 Depth=2
	s_or_b32 exec_lo, exec_lo, s5
	s_xor_b32 s10, s10, -1
	s_delay_alu instid0(SALU_CYCLE_1)
	s_and_saveexec_b32 s5, s10
	s_cbranch_execz .LBB2_1199
; %bb.1190:                             ;   in Loop: Header=BB2_1172 Depth=2
	v_and_b32_e32 v2, 0x100, v30
	s_mov_b32 s12, -1
                                        ; implicit-def: $vgpr48_vgpr49
	s_delay_alu instid0(VALU_DEP_1)
	v_cmp_ne_u32_e32 vcc_lo, 0, v2
	v_and_b32_e32 v2, 7, v22
	s_and_saveexec_b32 s10, vcc_lo
	s_cbranch_execz .LBB2_1194
; %bb.1191:                             ;   in Loop: Header=BB2_1172 Depth=2
	s_delay_alu instid0(VALU_DEP_1)
	v_mad_u64_u32 v[50:51], null, v2, 24, v[6:7]
	s_mov_b32 s12, exec_lo
                                        ; implicit-def: $vgpr48_vgpr49
	flat_load_b32 v9, v[50:51]
	s_waitcnt vmcnt(0) lgkmcnt(0)
	v_cmp_ne_u32_e32 vcc_lo, 1, v9
	v_cmpx_eq_u32_e32 1, v9
	s_cbranch_execz .LBB2_1193
; %bb.1192:                             ;   in Loop: Header=BB2_1172 Depth=2
	flat_load_b32 v48, v[50:51] offset:4 glc
	s_waitcnt vmcnt(0) lgkmcnt(0)
	v_ashrrev_i32_e32 v49, 31, v48
	s_delay_alu instid0(VALU_DEP_1)
	v_lshrrev_b64 v[48:49], 3, v[48:49]
.LBB2_1193:                             ;   in Loop: Header=BB2_1172 Depth=2
	s_or_b32 exec_lo, exec_lo, s12
	s_delay_alu instid0(SALU_CYCLE_1)
	s_or_not1_b32 s12, vcc_lo, exec_lo
.LBB2_1194:                             ;   in Loop: Header=BB2_1172 Depth=2
	s_or_b32 exec_lo, exec_lo, s10
	s_and_saveexec_b32 s10, s12
; %bb.1195:                             ;   in Loop: Header=BB2_1172 Depth=2
	v_mad_i64_i32 v[48:49], null, v2, v83, 0
; %bb.1196:                             ;   in Loop: Header=BB2_1172 Depth=2
	s_or_b32 exec_lo, exec_lo, s10
	s_delay_alu instid0(VALU_DEP_1) | instskip(SKIP_2) | instid1(VALU_DEP_2)
	v_lshlrev_b64 v[48:49], 3, v[48:49]
	v_and_b32_e32 v2, 0x2000, v30
	s_mov_b32 s10, exec_lo
	v_add_co_u32 v48, vcc_lo, v24, v48
	s_delay_alu instid0(VALU_DEP_3)
	v_add_co_ci_u32_e32 v49, vcc_lo, v25, v49, vcc_lo
	ds_store_b64 v0, v[48:49] offset:720
	v_cmpx_ne_u32_e32 0, v2
	s_cbranch_execz .LBB2_1198
; %bb.1197:                             ;   in Loop: Header=BB2_1172 Depth=2
	ds_load_b64 v[48:49], v0 offset:584
	s_waitcnt lgkmcnt(0)
	v_add_co_u32 v48, vcc_lo, v48, 1
	v_add_co_ci_u32_e32 v49, vcc_lo, 0, v49, vcc_lo
	ds_store_b64 v0, v[48:49] offset:584
.LBB2_1198:                             ;   in Loop: Header=BB2_1172 Depth=2
	s_or_b32 exec_lo, exec_lo, s10
	v_add_co_u32 v22, vcc_lo, v22, 2
	v_add_co_ci_u32_e32 v23, vcc_lo, 0, v23, vcc_lo
.LBB2_1199:                             ;   in Loop: Header=BB2_1172 Depth=2
	s_or_b32 exec_lo, exec_lo, s5
	s_and_saveexec_b32 s5, s3
	s_cbranch_execz .LBB2_1221
; %bb.1200:                             ;   in Loop: Header=BB2_1172 Depth=2
	s_and_saveexec_b32 s10, s4
	s_delay_alu instid0(SALU_CYCLE_1)
	s_xor_b32 s10, exec_lo, s10
	s_cbranch_execz .LBB2_1218
; %bb.1201:                             ;   in Loop: Header=BB2_1172 Depth=2
	s_and_saveexec_b32 s12, s1
	s_cbranch_execz .LBB2_1217
; %bb.1202:                             ;   in Loop: Header=BB2_1172 Depth=2
	s_mov_b32 s14, exec_lo
	s_mov_b32 s13, exec_lo
	v_mbcnt_lo_u32_b32 v2, s14, 0
	s_waitcnt lgkmcnt(0)
	s_waitcnt_vscnt null, 0x0
	buffer_gl1_inv
	buffer_gl0_inv
	v_cmpx_eq_u32_e32 0, v2
	s_cbranch_execz .LBB2_1204
; %bb.1203:                             ;   in Loop: Header=BB2_1172 Depth=2
	s_bcnt1_i32_b32 s14, s14
	s_delay_alu instid0(SALU_CYCLE_1)
	v_mov_b32_e32 v2, s14
	ds_add_u64 v0, v[2:3]
	s_cbranch_execnz .LBB2_1745
.LBB2_1204:                             ;   in Loop: Header=BB2_1172 Depth=2
	s_or_b32 exec_lo, exec_lo, s13
	s_cbranch_execnz .LBB2_1713
; %bb.1205:                             ;   in Loop: Header=BB2_1172 Depth=2
	ds_load_b64 v[48:49], v0
	v_add_co_u32 v12, vcc_lo, v12, v85
	v_add_co_ci_u32_e32 v13, vcc_lo, 0, v13, vcc_lo
	s_mov_b32 s13, exec_lo
	s_waitcnt lgkmcnt(0)
	s_delay_alu instid0(VALU_DEP_1)
	v_cmpx_lt_u64_e64 v[48:49], v[12:13]
	s_cbranch_execz .LBB2_1216
; %bb.1206:                             ;   in Loop: Header=BB2_1172 Depth=2
	s_mov_b32 s14, 0
	s_mov_b32 s35, 0
                                        ; implicit-def: $sgpr20
                                        ; implicit-def: $sgpr28
	s_branch .LBB2_1208
.LBB2_1207:                             ;   in Loop: Header=BB2_1208 Depth=3
	s_or_b32 exec_lo, exec_lo, s37
	s_delay_alu instid0(SALU_CYCLE_1) | instskip(NEXT) | instid1(SALU_CYCLE_1)
	s_and_b32 vcc_lo, exec_lo, vcc_lo
	s_or_b32 s14, vcc_lo, s14
	s_and_not1_b32 s20, s20, exec_lo
	s_and_b32 vcc_lo, s28, exec_lo
	s_delay_alu instid0(SALU_CYCLE_1)
	s_or_b32 s20, s20, vcc_lo
	s_and_not1_b32 exec_lo, exec_lo, s14
	s_cbranch_execz .LBB2_1214
.LBB2_1208:                             ;   Parent Loop BB2_51 Depth=1
                                        ;     Parent Loop BB2_1172 Depth=2
                                        ; =>    This Inner Loop Header: Depth=3
	s_add_i32 s35, s35, 1
                                        ; implicit-def: $sgpr37
	s_delay_alu instid0(SALU_CYCLE_1) | instskip(SKIP_1) | instid1(SALU_CYCLE_1)
	s_cmpk_lg_i32 s35, 0x2710
	s_cselect_b32 s36, -1, 0
	s_and_b32 vcc_lo, exec_lo, s36
	s_cbranch_vccz .LBB2_1212
.LBB2_1209:                             ;   in Loop: Header=BB2_1208 Depth=3
	s_and_not1_b32 s28, s28, exec_lo
	s_and_b32 s37, s37, exec_lo
	s_mov_b32 vcc_lo, -1
	s_or_b32 s28, s28, s37
	s_and_saveexec_b32 s37, s36
	s_cbranch_execz .LBB2_1207
; %bb.1210:                             ;   in Loop: Header=BB2_1208 Depth=3
	s_sleep 1
	s_cbranch_execnz .LBB2_1795
; %bb.1211:                             ;   in Loop: Header=BB2_1208 Depth=3
	ds_load_b64 v[48:49], v0
	s_and_not1_b32 s28, s28, exec_lo
	s_waitcnt lgkmcnt(0)
	v_cmp_ge_u64_e32 vcc_lo, v[48:49], v[12:13]
	s_or_not1_b32 vcc_lo, vcc_lo, exec_lo
	s_branch .LBB2_1207
.LBB2_1212:                             ;   in Loop: Header=BB2_1208 Depth=3
	s_cbranch_execnz .LBB2_1811
; %bb.1213:                             ;   in Loop: Header=BB2_1208 Depth=3
	ds_load_b64 v[48:49], v0
	s_and_not1_b32 s36, s36, exec_lo
	s_mov_b32 s35, 0
	s_mov_b32 s37, -1
	s_waitcnt lgkmcnt(0)
	flat_load_b32 v2, v[48:49] glc
	s_waitcnt vmcnt(0) lgkmcnt(0)
	buffer_gl1_inv
	buffer_gl0_inv
	v_cmp_eq_u32_e32 vcc_lo, 0, v2
	s_and_b32 vcc_lo, vcc_lo, exec_lo
	s_delay_alu instid0(SALU_CYCLE_1)
	s_or_b32 s36, s36, vcc_lo
	s_branch .LBB2_1209
.LBB2_1214:                             ;   in Loop: Header=BB2_1172 Depth=2
	s_or_b32 exec_lo, exec_lo, s14
	s_and_saveexec_b32 s14, s20
	s_delay_alu instid0(SALU_CYCLE_1)
	s_xor_b32 s14, exec_lo, s14
	s_cbranch_execz .LBB2_1216
; %bb.1215:                             ;   in Loop: Header=BB2_1172 Depth=2
	ds_store_b32 v0, v118
	s_cbranch_execnz .LBB2_1931
.LBB2_1216:                             ;   in Loop: Header=BB2_1172 Depth=2
	s_or_b32 exec_lo, exec_lo, s13
	;;#ASMSTART
	s_wakeup
	;;#ASMEND
.LBB2_1217:                             ;   in Loop: Header=BB2_1172 Depth=2
	s_or_b32 exec_lo, exec_lo, s12
.LBB2_1218:                             ;   in Loop: Header=BB2_1172 Depth=2
	s_and_not1_saveexec_b32 s10, s10
	s_cbranch_execz .LBB2_1220
; %bb.1219:                             ;   in Loop: Header=BB2_1172 Depth=2
	s_waitcnt lgkmcnt(0)
	s_waitcnt_vscnt null, 0x0
	buffer_gl1_inv
	buffer_gl0_inv
	s_barrier
.LBB2_1220:                             ;   in Loop: Header=BB2_1172 Depth=2
	s_or_b32 exec_lo, exec_lo, s10
.LBB2_1221:                             ;   in Loop: Header=BB2_1172 Depth=2
	s_delay_alu instid0(SALU_CYCLE_1)
	s_or_b32 exec_lo, exec_lo, s5
	s_cbranch_execnz .LBB2_1581
; %bb.1222:                             ;   in Loop: Header=BB2_1172 Depth=2
	ds_load_b32 v48, v0
	v_and_b32_e32 v2, 0x4000, v30
	s_xor_b32 s5, s2, -1
	s_delay_alu instid0(VALU_DEP_1) | instskip(SKIP_1) | instid1(SALU_CYCLE_1)
	v_cmp_ne_u32_e32 vcc_lo, 0, v2
	s_and_b32 s10, s5, vcc_lo
	s_and_saveexec_b32 s5, s10
	s_cbranch_execz .LBB2_1244
; %bb.1223:                             ;   in Loop: Header=BB2_1172 Depth=2
	s_and_saveexec_b32 s10, s4
	s_delay_alu instid0(SALU_CYCLE_1)
	s_xor_b32 s10, exec_lo, s10
	s_cbranch_execz .LBB2_1241
; %bb.1224:                             ;   in Loop: Header=BB2_1172 Depth=2
	s_and_saveexec_b32 s12, s1
	s_cbranch_execz .LBB2_1240
; %bb.1225:                             ;   in Loop: Header=BB2_1172 Depth=2
	s_mov_b32 s14, exec_lo
	s_mov_b32 s13, exec_lo
	v_mbcnt_lo_u32_b32 v2, s14, 0
	s_waitcnt lgkmcnt(0)
	s_waitcnt_vscnt null, 0x0
	buffer_gl1_inv
	buffer_gl0_inv
	v_cmpx_eq_u32_e32 0, v2
	s_cbranch_execz .LBB2_1227
; %bb.1226:                             ;   in Loop: Header=BB2_1172 Depth=2
	s_bcnt1_i32_b32 s14, s14
	s_delay_alu instid0(SALU_CYCLE_1)
	v_mov_b32_e32 v2, s14
	ds_add_u64 v0, v[2:3]
	s_cbranch_execnz .LBB2_1787
.LBB2_1227:                             ;   in Loop: Header=BB2_1172 Depth=2
	s_or_b32 exec_lo, exec_lo, s13
	s_cbranch_execnz .LBB2_1767
; %bb.1228:                             ;   in Loop: Header=BB2_1172 Depth=2
	ds_load_b64 v[49:50], v0
	v_add_co_u32 v12, vcc_lo, v12, v85
	v_add_co_ci_u32_e32 v13, vcc_lo, 0, v13, vcc_lo
	s_mov_b32 s13, exec_lo
	s_waitcnt lgkmcnt(0)
	s_delay_alu instid0(VALU_DEP_1)
	v_cmpx_lt_u64_e64 v[49:50], v[12:13]
	s_cbranch_execz .LBB2_1239
; %bb.1229:                             ;   in Loop: Header=BB2_1172 Depth=2
	s_mov_b32 s14, 0
	s_mov_b32 s35, 0
                                        ; implicit-def: $sgpr20
                                        ; implicit-def: $sgpr28
	s_branch .LBB2_1231
.LBB2_1230:                             ;   in Loop: Header=BB2_1231 Depth=3
	s_or_b32 exec_lo, exec_lo, s37
	s_delay_alu instid0(SALU_CYCLE_1) | instskip(NEXT) | instid1(SALU_CYCLE_1)
	s_and_b32 vcc_lo, exec_lo, vcc_lo
	s_or_b32 s14, vcc_lo, s14
	s_and_not1_b32 s20, s20, exec_lo
	s_and_b32 vcc_lo, s28, exec_lo
	s_delay_alu instid0(SALU_CYCLE_1)
	s_or_b32 s20, s20, vcc_lo
	s_and_not1_b32 exec_lo, exec_lo, s14
	s_cbranch_execz .LBB2_1237
.LBB2_1231:                             ;   Parent Loop BB2_51 Depth=1
                                        ;     Parent Loop BB2_1172 Depth=2
                                        ; =>    This Inner Loop Header: Depth=3
	s_add_i32 s35, s35, 1
                                        ; implicit-def: $sgpr37
	s_delay_alu instid0(SALU_CYCLE_1) | instskip(SKIP_1) | instid1(SALU_CYCLE_1)
	s_cmpk_lg_i32 s35, 0x2710
	s_cselect_b32 s36, -1, 0
	s_and_b32 vcc_lo, exec_lo, s36
	s_cbranch_vccz .LBB2_1235
.LBB2_1232:                             ;   in Loop: Header=BB2_1231 Depth=3
	s_and_not1_b32 s28, s28, exec_lo
	s_and_b32 s37, s37, exec_lo
	s_mov_b32 vcc_lo, -1
	s_or_b32 s28, s28, s37
	s_and_saveexec_b32 s37, s36
	s_cbranch_execz .LBB2_1230
; %bb.1233:                             ;   in Loop: Header=BB2_1231 Depth=3
	s_sleep 1
	s_cbranch_execnz .LBB2_1849
; %bb.1234:                             ;   in Loop: Header=BB2_1231 Depth=3
	ds_load_b64 v[49:50], v0
	s_and_not1_b32 s28, s28, exec_lo
	s_waitcnt lgkmcnt(0)
	v_cmp_ge_u64_e32 vcc_lo, v[49:50], v[12:13]
	s_or_not1_b32 vcc_lo, vcc_lo, exec_lo
	s_branch .LBB2_1230
.LBB2_1235:                             ;   in Loop: Header=BB2_1231 Depth=3
	s_cbranch_execnz .LBB2_1861
; %bb.1236:                             ;   in Loop: Header=BB2_1231 Depth=3
	ds_load_b64 v[49:50], v0
	s_and_not1_b32 s36, s36, exec_lo
	s_mov_b32 s35, 0
	s_mov_b32 s37, -1
	s_waitcnt lgkmcnt(0)
	flat_load_b32 v2, v[49:50] glc
	s_waitcnt vmcnt(0) lgkmcnt(0)
	buffer_gl1_inv
	buffer_gl0_inv
	v_cmp_eq_u32_e32 vcc_lo, 0, v2
	s_and_b32 vcc_lo, vcc_lo, exec_lo
	s_delay_alu instid0(SALU_CYCLE_1)
	s_or_b32 s36, s36, vcc_lo
	s_branch .LBB2_1232
.LBB2_1237:                             ;   in Loop: Header=BB2_1172 Depth=2
	s_or_b32 exec_lo, exec_lo, s14
	s_and_saveexec_b32 s14, s20
	s_delay_alu instid0(SALU_CYCLE_1)
	s_xor_b32 s14, exec_lo, s14
	s_cbranch_execz .LBB2_1239
; %bb.1238:                             ;   in Loop: Header=BB2_1172 Depth=2
	ds_store_b32 v0, v118
	s_cbranch_execnz .LBB2_1947
.LBB2_1239:                             ;   in Loop: Header=BB2_1172 Depth=2
	s_or_b32 exec_lo, exec_lo, s13
	;;#ASMSTART
	s_wakeup
	;;#ASMEND
.LBB2_1240:                             ;   in Loop: Header=BB2_1172 Depth=2
	s_or_b32 exec_lo, exec_lo, s12
.LBB2_1241:                             ;   in Loop: Header=BB2_1172 Depth=2
	s_and_not1_saveexec_b32 s10, s10
	s_cbranch_execz .LBB2_1243
; %bb.1242:                             ;   in Loop: Header=BB2_1172 Depth=2
	s_waitcnt lgkmcnt(0)
	s_waitcnt_vscnt null, 0x0
	buffer_gl1_inv
	buffer_gl0_inv
	s_barrier
.LBB2_1243:                             ;   in Loop: Header=BB2_1172 Depth=2
	s_or_b32 exec_lo, exec_lo, s10
.LBB2_1244:                             ;   in Loop: Header=BB2_1172 Depth=2
	s_delay_alu instid0(SALU_CYCLE_1)
	s_or_b32 exec_lo, exec_lo, s5
	s_cbranch_execnz .LBB2_1639
; %bb.1245:                             ;   in Loop: Header=BB2_1172 Depth=2
	ds_load_b64 v[49:50], v0
	v_sub_nc_u32_e32 v2, v52, v8
	v_mov_b32_e32 v9, 0
	s_delay_alu instid0(VALU_DEP_2) | instskip(SKIP_3) | instid1(SALU_CYCLE_1)
	v_min_i32_e32 v53, v53, v2
	s_waitcnt lgkmcnt(0)
	v_cmp_eq_u64_e32 vcc_lo, 0, v[49:50]
	s_or_b32 s5, vcc_lo, vcc_lo
	s_and_b32 vcc_lo, exec_lo, s5
	s_cbranch_vccnz .LBB2_1280
; %bb.1246:                             ;   in Loop: Header=BB2_1172 Depth=2
	s_mov_b32 s5, -1
	s_and_saveexec_b32 s10, vcc_hi
	s_cbranch_execz .LBB2_1248
; %bb.1247:                             ;   in Loop: Header=BB2_1172 Depth=2
	ds_load_b32 v2, v0 offset:720
	s_waitcnt lgkmcnt(0)
	v_and_b32_e32 v2, 15, v2
	s_delay_alu instid0(VALU_DEP_1)
	v_cmp_eq_u32_e32 vcc_lo, 0, v2
	s_or_not1_b32 s5, vcc_lo, exec_lo
.LBB2_1248:                             ;   in Loop: Header=BB2_1172 Depth=2
	s_or_b32 exec_lo, exec_lo, s10
	s_delay_alu instid0(SALU_CYCLE_1) | instskip(SKIP_1) | instid1(VALU_DEP_1)
	s_mov_b32 s10, exec_lo
	v_readlane_b32 s12, v42, 3
	s_and_b32 s12, s10, s12
	s_delay_alu instid0(SALU_CYCLE_1)
	s_mov_b32 exec_lo, s12
	s_cbranch_execz .LBB2_1250
; %bb.1249:                             ;   in Loop: Header=BB2_1172 Depth=2
	ds_load_b32 v2, v0 offset:784
	s_waitcnt lgkmcnt(0)
	v_and_b32_e32 v2, 15, v2
	s_delay_alu instid0(VALU_DEP_1) | instskip(SKIP_3) | instid1(SALU_CYCLE_1)
	v_cmp_eq_u32_e32 vcc_lo, 0, v2
	s_and_b32 s12, s5, vcc_lo
	s_and_not1_b32 s5, s5, exec_lo
	s_and_b32 s12, s12, exec_lo
	s_or_b32 s5, s5, s12
.LBB2_1250:                             ;   in Loop: Header=BB2_1172 Depth=2
	s_or_b32 exec_lo, exec_lo, s10
	v_cmp_eq_u32_e32 vcc_lo, 0, v48
	s_xor_b32 s5, s5, -1
	s_mov_b32 s10, -1
	v_cndmask_b32_e64 v2, 0, 1, s5
	;;#ASMSTART
	;;#ASMEND
	v_dual_cndmask_b32 v9, 0, v53 :: v_dual_mov_b32 v50, 0
	s_delay_alu instid0(VALU_DEP_2) | instskip(NEXT) | instid1(VALU_DEP_2)
	v_cmp_ne_u32_e32 vcc_lo, 0, v2
	v_lshlrev_b32_e32 v2, 3, v9
	s_cbranch_vccz .LBB2_1252
; %bb.1251:                             ;   in Loop: Header=BB2_1172 Depth=2
	v_dual_mov_b32 v51, v87 :: v_dual_mov_b32 v48, v86
	s_branch .LBB2_1267
.LBB2_1252:                             ;   in Loop: Header=BB2_1172 Depth=2
	s_delay_alu instid0(VALU_DEP_1) | instskip(SKIP_1) | instid1(VALU_DEP_1)
	v_ashrrev_i32_e32 v48, 31, v2
	s_mov_b32 s5, exec_lo
	v_lshrrev_b32_e32 v48, 22, v48
	s_delay_alu instid0(VALU_DEP_1) | instskip(NEXT) | instid1(VALU_DEP_1)
	v_add_nc_u32_e32 v48, v2, v48
	v_ashrrev_i32_e32 v54, 10, v48
	s_delay_alu instid0(VALU_DEP_1) | instskip(NEXT) | instid1(VALU_DEP_1)
	v_sub_nc_u32_e32 v55, v54, v86
	v_cmpx_lt_i32_e32 0, v55
	s_cbranch_execz .LBB2_1257
; %bb.1253:                             ;   in Loop: Header=BB2_1172 Depth=2
	s_cbranch_execnz .LBB2_1815
; %bb.1254:                             ;   in Loop: Header=BB2_1172 Depth=2
	ds_load_b64 v[48:49], v0
	v_dual_mov_b32 v51, v35 :: v_dual_mov_b32 v50, v34
	s_mov_b32 s10, 0
.LBB2_1255:                             ;   Parent Loop BB2_51 Depth=1
                                        ;     Parent Loop BB2_1172 Depth=2
                                        ; =>    This Inner Loop Header: Depth=3
	s_waitcnt lgkmcnt(0)
	s_delay_alu instid0(VALU_DEP_1) | instskip(NEXT) | instid1(VALU_DEP_2)
	v_add_co_u32 v80, vcc_lo, v48, v50
	v_add_co_ci_u32_e32 v81, vcc_lo, v49, v51, vcc_lo
	v_sub_nc_u32_e32 v55, v55, v85
	v_add_co_u32 v50, s13, v50, v99
	s_clause 0x1
	global_load_b128 v[64:67], v[80:81], off slc dlc
	global_load_b128 v[68:71], v[80:81], off offset:512 slc dlc
	v_add_co_ci_u32_e64 v51, s13, v51, v100, s13
	v_cmp_gt_i32_e32 vcc_lo, 1, v55
	s_waitcnt vmcnt(1)
	global_store_b128 v[80:81], v[64:67], off glc slc dlc
	s_waitcnt vmcnt(0)
	global_store_b128 v[80:81], v[68:71], off offset:512 glc slc dlc
	s_or_b32 s10, vcc_lo, s10
	s_delay_alu instid0(SALU_CYCLE_1)
	s_and_not1_b32 exec_lo, exec_lo, s10
	s_cbranch_execnz .LBB2_1255
; %bb.1256:                             ;   in Loop: Header=BB2_1172 Depth=2
	s_or_b32 exec_lo, exec_lo, s10
.LBB2_1257:                             ;   in Loop: Header=BB2_1172 Depth=2
	s_delay_alu instid0(SALU_CYCLE_1) | instskip(SKIP_4) | instid1(VALU_DEP_2)
	s_or_b32 exec_lo, exec_lo, s5
	v_lshlrev_b32_e32 v54, 10, v54
	v_mov_b32_e32 v50, 0
	s_mov_b32 s10, 0
	s_mov_b32 s5, exec_lo
                                        ; implicit-def: $vgpr51
                                        ; implicit-def: $vgpr48
	v_cmpx_ne_u32_e64 v2, v54
	s_cbranch_execz .LBB2_1266
; %bb.1258:                             ;   in Loop: Header=BB2_1172 Depth=2
	v_lshlrev_b32_e32 v48, 5, v55
	v_sub_nc_u32_e32 v50, v2, v54
	s_mov_b32 s10, exec_lo
	s_delay_alu instid0(VALU_DEP_2) | instskip(NEXT) | instid1(VALU_DEP_2)
	v_sub_nc_u32_e32 v48, v87, v48
	v_ashrrev_i32_e32 v51, 31, v50
	s_delay_alu instid0(VALU_DEP_2) | instskip(NEXT) | instid1(VALU_DEP_2)
	v_ashrrev_i32_e32 v49, 31, v48
	v_lshrrev_b32_e32 v51, 23, v51
	s_delay_alu instid0(VALU_DEP_2) | instskip(NEXT) | instid1(VALU_DEP_2)
	v_lshrrev_b32_e32 v49, 27, v49
	v_add_nc_u32_e32 v51, v50, v51
	s_delay_alu instid0(VALU_DEP_2) | instskip(NEXT) | instid1(VALU_DEP_2)
	v_add_nc_u32_e32 v49, v48, v49
	v_ashrrev_i32_e32 v66, 9, v51
	s_delay_alu instid0(VALU_DEP_2) | instskip(NEXT) | instid1(VALU_DEP_1)
	v_and_b32_e32 v55, 0xffffffe0, v49
	v_sub_nc_u32_e32 v64, v48, v55
	v_and_b32_e32 v55, 0xfffffe00, v51
	v_ashrrev_i32_e32 v48, 5, v49
	s_delay_alu instid0(VALU_DEP_3) | instskip(NEXT) | instid1(VALU_DEP_3)
	v_lshlrev_b32_e32 v49, 4, v64
	v_sub_nc_u32_e32 v65, v50, v55
	s_delay_alu instid0(VALU_DEP_2) | instskip(NEXT) | instid1(VALU_DEP_2)
	v_lshl_add_u32 v51, v48, 9, v49
	v_cmp_lt_i32_e32 vcc_lo, 15, v65
	s_delay_alu instid0(VALU_DEP_2) | instskip(SKIP_1) | instid1(VALU_DEP_1)
	v_sub_nc_u32_e32 v50, v50, v51
	v_add_co_ci_u32_e64 v49, s13, 0, v66, vcc_lo
	v_sub_nc_u32_e32 v66, v49, v48
	s_delay_alu instid0(VALU_DEP_3)
	v_cmpx_lt_i32_e32 15, v50
	s_cbranch_execz .LBB2_1263
; %bb.1259:                             ;   in Loop: Header=BB2_1172 Depth=2
	s_cbranch_execnz .LBB2_1873
; %bb.1260:                             ;   in Loop: Header=BB2_1172 Depth=2
	ds_load_b64 v[48:49], v0
	v_add_nc_u32_e32 v51, v51, v54
	s_mov_b32 s12, 0
	s_delay_alu instid0(VALU_DEP_1)
	v_ashrrev_i32_e32 v67, 31, v51
.LBB2_1261:                             ;   Parent Loop BB2_51 Depth=1
                                        ;     Parent Loop BB2_1172 Depth=2
                                        ; =>    This Inner Loop Header: Depth=3
	s_waitcnt lgkmcnt(0)
	v_add_co_u32 v80, s13, v48, v51
	s_delay_alu instid0(VALU_DEP_1)
	v_add_co_ci_u32_e64 v81, s13, v49, v67, s13
	v_sub_nc_u32_e32 v50, v50, v96
	v_add_co_u32 v51, s14, v51, v103
	global_load_b128 v[68:71], v[80:81], off slc dlc
	v_sub_nc_u32_e32 v66, v66, v85
	v_cmp_gt_i32_e64 s13, 16, v50
	v_add_co_ci_u32_e64 v67, s14, v67, v112, s14
	s_delay_alu instid0(VALU_DEP_2)
	s_or_b32 s12, s13, s12
	s_waitcnt vmcnt(0)
	global_store_b128 v[80:81], v[68:71], off glc slc dlc
	s_and_not1_b32 exec_lo, exec_lo, s12
	s_cbranch_execnz .LBB2_1261
; %bb.1262:                             ;   in Loop: Header=BB2_1172 Depth=2
	s_or_b32 exec_lo, exec_lo, s12
.LBB2_1263:                             ;   in Loop: Header=BB2_1172 Depth=2
	s_delay_alu instid0(SALU_CYCLE_1) | instskip(SKIP_3) | instid1(VALU_DEP_1)
	s_or_b32 exec_lo, exec_lo, s10
	v_dual_mov_b32 v50, 0 :: v_dual_and_b32 v49, 8, v2
	s_mov_b32 s10, 0
	s_mov_b32 s12, exec_lo
                                        ; implicit-def: $vgpr51
                                        ; implicit-def: $vgpr48
	v_cndmask_b32_e32 v2, v65, v49, vcc_lo
	s_delay_alu instid0(VALU_DEP_1)
	v_cmpx_ne_u32_e32 0, v2
	s_cbranch_execz .LBB2_1265
; %bb.1264:                             ;   in Loop: Header=BB2_1172 Depth=2
	v_cmp_lt_i32_e64 s13, 0, v66
	v_sub_nc_u32_e32 v49, v65, v49
	s_mov_b32 s10, exec_lo
	s_delay_alu instid0(VALU_DEP_2) | instskip(NEXT) | instid1(VALU_DEP_2)
	v_cndmask_b32_e64 v48, 0, v85, s13
	v_cndmask_b32_e32 v49, 0, v49, vcc_lo
	s_delay_alu instid0(VALU_DEP_2) | instskip(NEXT) | instid1(VALU_DEP_2)
	v_sub_nc_u32_e32 v48, v48, v66
	v_add3_u32 v50, v55, v54, v49
	s_delay_alu instid0(VALU_DEP_2) | instskip(NEXT) | instid1(VALU_DEP_1)
	v_lshl_add_u32 v51, v48, 5, v64
	v_ashrrev_i32_e32 v48, 31, v51
	s_delay_alu instid0(VALU_DEP_1) | instskip(NEXT) | instid1(VALU_DEP_1)
	v_lshrrev_b32_e32 v48, 27, v48
	v_add_nc_u32_e32 v48, v51, v48
	s_delay_alu instid0(VALU_DEP_1) | instskip(SKIP_1) | instid1(VALU_DEP_2)
	v_and_b32_e32 v64, 0xffffffe0, v48
	v_ashrrev_i32_e32 v48, 5, v48
	v_sub_nc_u32_e32 v51, v51, v64
.LBB2_1265:                             ;   in Loop: Header=BB2_1172 Depth=2
	s_or_b32 exec_lo, exec_lo, s12
	s_delay_alu instid0(SALU_CYCLE_1)
	s_and_b32 s10, s10, exec_lo
.LBB2_1266:                             ;   in Loop: Header=BB2_1172 Depth=2
	s_or_b32 exec_lo, exec_lo, s5
.LBB2_1267:                             ;   in Loop: Header=BB2_1172 Depth=2
	s_and_saveexec_b32 s5, s10
	s_cbranch_execz .LBB2_1279
; %bb.1268:                             ;   in Loop: Header=BB2_1172 Depth=2
	v_ashrrev_i32_e32 v49, 31, v2
	v_lshlrev_b32_e32 v55, 3, v51
	s_mov_b32 s10, exec_lo
	s_delay_alu instid0(VALU_DEP_2) | instskip(NEXT) | instid1(VALU_DEP_2)
	v_lshrrev_b32_e32 v49, 24, v49
	v_lshl_add_u32 v66, v48, 8, v55
	s_delay_alu instid0(VALU_DEP_2) | instskip(NEXT) | instid1(VALU_DEP_2)
	v_add_nc_u32_e32 v49, v2, v49
	v_sub_nc_u32_e32 v65, v2, v66
	s_delay_alu instid0(VALU_DEP_2) | instskip(SKIP_1) | instid1(VALU_DEP_2)
	v_and_b32_e32 v54, 0xffffff00, v49
	v_ashrrev_i32_e32 v49, 8, v49
	v_sub_nc_u32_e32 v55, v2, v54
	s_delay_alu instid0(VALU_DEP_2) | instskip(NEXT) | instid1(VALU_DEP_2)
	v_sub_nc_u32_e32 v48, v49, v48
	v_cmp_lt_i32_e32 vcc_lo, 7, v55
	s_delay_alu instid0(VALU_DEP_2)
	v_add_co_ci_u32_e64 v64, s13, 0, v48, vcc_lo
	v_cmpx_lt_i32_e32 7, v65
	s_cbranch_execz .LBB2_1273
; %bb.1269:                             ;   in Loop: Header=BB2_1172 Depth=2
	s_cbranch_execnz .LBB2_1807
; %bb.1270:                             ;   in Loop: Header=BB2_1172 Depth=2
	ds_load_b64 v[48:49], v0
	v_add_nc_u32_e32 v66, v66, v50
	s_mov_b32 s12, 0
	s_delay_alu instid0(VALU_DEP_1)
	v_ashrrev_i32_e32 v67, 31, v66
.LBB2_1271:                             ;   Parent Loop BB2_51 Depth=1
                                        ;     Parent Loop BB2_1172 Depth=2
                                        ; =>    This Inner Loop Header: Depth=3
	s_waitcnt lgkmcnt(0)
	v_add_co_u32 v68, s13, v48, v66
	s_delay_alu instid0(VALU_DEP_1)
	v_add_co_ci_u32_e64 v69, s13, v49, v67, s13
	v_sub_nc_u32_e32 v65, v65, v98
	v_add_co_u32 v66, s14, v66, v114
	flat_load_b64 v[70:71], v[68:69] slc dlc
	v_sub_nc_u32_e32 v64, v64, v85
	v_cmp_gt_i32_e64 s13, 8, v65
	v_add_co_ci_u32_e64 v67, s14, v67, v115, s14
	s_delay_alu instid0(VALU_DEP_2)
	s_or_b32 s12, s13, s12
	s_waitcnt vmcnt(0) lgkmcnt(0)
	flat_store_b64 v[68:69], v[70:71] glc slc dlc
	s_and_not1_b32 exec_lo, exec_lo, s12
	s_cbranch_execnz .LBB2_1271
; %bb.1272:                             ;   in Loop: Header=BB2_1172 Depth=2
	s_or_b32 exec_lo, exec_lo, s12
.LBB2_1273:                             ;   in Loop: Header=BB2_1172 Depth=2
	s_delay_alu instid0(SALU_CYCLE_1) | instskip(SKIP_2) | instid1(VALU_DEP_1)
	s_or_b32 exec_lo, exec_lo, s10
	v_and_b32_e32 v48, 7, v2
	s_mov_b32 s10, exec_lo
	v_cndmask_b32_e32 v2, v55, v48, vcc_lo
	s_delay_alu instid0(VALU_DEP_1)
	v_cmpx_ne_u32_e32 0, v2
	s_cbranch_execz .LBB2_1278
; %bb.1274:                             ;   in Loop: Header=BB2_1172 Depth=2
	v_cmp_lt_i32_e64 s13, 0, v64
	s_delay_alu instid0(VALU_DEP_1) | instskip(NEXT) | instid1(VALU_DEP_1)
	v_cndmask_b32_e64 v49, 0, v85, s13
	v_sub_nc_u32_e32 v49, v49, v64
	s_delay_alu instid0(VALU_DEP_1) | instskip(NEXT) | instid1(VALU_DEP_1)
	v_lshl_add_u32 v49, v49, 5, v51
	v_ashrrev_i32_e32 v51, 31, v49
	s_delay_alu instid0(VALU_DEP_1) | instskip(NEXT) | instid1(VALU_DEP_1)
	v_lshrrev_b32_e32 v51, 27, v51
	v_add_nc_u32_e32 v51, v49, v51
	s_delay_alu instid0(VALU_DEP_1) | instskip(SKIP_1) | instid1(VALU_DEP_2)
	v_and_b32_e32 v64, 0x1fffffe0, v51
	v_lshlrev_b32_e32 v51, 3, v51
	v_sub_nc_u32_e32 v49, v49, v64
	s_delay_alu instid0(VALU_DEP_2) | instskip(NEXT) | instid1(VALU_DEP_1)
	v_and_b32_e32 v51, 0xffffff00, v51
	v_lshl_add_u32 v51, v49, 3, v51
	s_delay_alu instid0(VALU_DEP_1) | instskip(NEXT) | instid1(VALU_DEP_1)
	v_sub_nc_u32_e32 v2, v2, v51
	v_cmp_lt_i32_e64 s13, 7, v2
	s_delay_alu instid0(VALU_DEP_1)
	s_and_b32 exec_lo, exec_lo, s13
	s_cbranch_execz .LBB2_1278
; %bb.1275:                             ;   in Loop: Header=BB2_1172 Depth=2
	s_cbranch_execnz .LBB2_1867
; %bb.1276:                             ;   in Loop: Header=BB2_1172 Depth=2
	v_sub_nc_u32_e32 v55, v55, v48
	ds_load_b64 v[48:49], v0
	v_add_nc_u32_e32 v50, v54, v50
	s_mov_b32 s12, 0
	v_cndmask_b32_e32 v54, 0, v55, vcc_lo
	s_delay_alu instid0(VALU_DEP_1) | instskip(NEXT) | instid1(VALU_DEP_1)
	v_add3_u32 v50, v50, v54, v51
	v_ashrrev_i32_e32 v51, 31, v50
.LBB2_1277:                             ;   Parent Loop BB2_51 Depth=1
                                        ;     Parent Loop BB2_1172 Depth=2
                                        ; =>    This Inner Loop Header: Depth=3
	s_waitcnt lgkmcnt(0)
	v_add_co_u32 v54, vcc_lo, v48, v50
	s_delay_alu instid0(VALU_DEP_2)
	v_add_co_ci_u32_e32 v55, vcc_lo, v49, v51, vcc_lo
	v_sub_nc_u32_e32 v2, v2, v98
	v_add_co_u32 v50, s13, v50, v114
	flat_load_b64 v[64:65], v[54:55] slc dlc
	v_add_co_ci_u32_e64 v51, s13, v51, v115, s13
	v_cmp_gt_i32_e32 vcc_lo, 8, v2
	s_or_b32 s12, vcc_lo, s12
	s_waitcnt vmcnt(0) lgkmcnt(0)
	flat_store_b64 v[54:55], v[64:65] glc slc dlc
	s_and_not1_b32 exec_lo, exec_lo, s12
	s_cbranch_execnz .LBB2_1277
.LBB2_1278:                             ;   in Loop: Header=BB2_1172 Depth=2
	s_or_b32 exec_lo, exec_lo, s10
.LBB2_1279:                             ;   in Loop: Header=BB2_1172 Depth=2
	s_delay_alu instid0(SALU_CYCLE_1)
	s_or_b32 exec_lo, exec_lo, s5
.LBB2_1280:                             ;   in Loop: Header=BB2_1172 Depth=2
	s_and_saveexec_b32 s5, s3
	s_cbranch_execz .LBB2_1302
; %bb.1281:                             ;   in Loop: Header=BB2_1172 Depth=2
	s_and_saveexec_b32 s10, s4
	s_delay_alu instid0(SALU_CYCLE_1)
	s_xor_b32 s10, exec_lo, s10
	s_cbranch_execz .LBB2_1299
; %bb.1282:                             ;   in Loop: Header=BB2_1172 Depth=2
	s_and_saveexec_b32 s12, s1
	s_cbranch_execz .LBB2_1298
; %bb.1283:                             ;   in Loop: Header=BB2_1172 Depth=2
	s_mov_b32 s14, exec_lo
	s_mov_b32 s13, exec_lo
	v_mbcnt_lo_u32_b32 v2, s14, 0
	s_waitcnt lgkmcnt(0)
	s_waitcnt_vscnt null, 0x0
	buffer_gl1_inv
	buffer_gl0_inv
	v_cmpx_eq_u32_e32 0, v2
	s_cbranch_execz .LBB2_1285
; %bb.1284:                             ;   in Loop: Header=BB2_1172 Depth=2
	s_bcnt1_i32_b32 s14, s14
	s_delay_alu instid0(SALU_CYCLE_1)
	v_mov_b32_e32 v2, s14
	ds_add_u64 v0, v[2:3]
	s_cbranch_execnz .LBB2_1853
.LBB2_1285:                             ;   in Loop: Header=BB2_1172 Depth=2
	s_or_b32 exec_lo, exec_lo, s13
	s_cbranch_execnz .LBB2_1829
; %bb.1286:                             ;   in Loop: Header=BB2_1172 Depth=2
	ds_load_b64 v[48:49], v0
	v_add_co_u32 v12, vcc_lo, v12, v85
	v_add_co_ci_u32_e32 v13, vcc_lo, 0, v13, vcc_lo
	s_mov_b32 s13, exec_lo
	s_waitcnt lgkmcnt(0)
	s_delay_alu instid0(VALU_DEP_1)
	v_cmpx_lt_u64_e64 v[48:49], v[12:13]
	s_cbranch_execz .LBB2_1297
; %bb.1287:                             ;   in Loop: Header=BB2_1172 Depth=2
	s_mov_b32 s14, 0
	s_mov_b32 s35, 0
                                        ; implicit-def: $sgpr20
                                        ; implicit-def: $sgpr28
	s_branch .LBB2_1289
.LBB2_1288:                             ;   in Loop: Header=BB2_1289 Depth=3
	s_or_b32 exec_lo, exec_lo, s37
	s_delay_alu instid0(SALU_CYCLE_1) | instskip(NEXT) | instid1(SALU_CYCLE_1)
	s_and_b32 vcc_lo, exec_lo, vcc_lo
	s_or_b32 s14, vcc_lo, s14
	s_and_not1_b32 s20, s20, exec_lo
	s_and_b32 vcc_lo, s28, exec_lo
	s_delay_alu instid0(SALU_CYCLE_1)
	s_or_b32 s20, s20, vcc_lo
	s_and_not1_b32 exec_lo, exec_lo, s14
	s_cbranch_execz .LBB2_1295
.LBB2_1289:                             ;   Parent Loop BB2_51 Depth=1
                                        ;     Parent Loop BB2_1172 Depth=2
                                        ; =>    This Inner Loop Header: Depth=3
	s_add_i32 s35, s35, 1
                                        ; implicit-def: $sgpr37
	s_delay_alu instid0(SALU_CYCLE_1) | instskip(SKIP_1) | instid1(SALU_CYCLE_1)
	s_cmpk_lg_i32 s35, 0x2710
	s_cselect_b32 s36, -1, 0
	s_and_b32 vcc_lo, exec_lo, s36
	s_cbranch_vccz .LBB2_1293
.LBB2_1290:                             ;   in Loop: Header=BB2_1289 Depth=3
	s_and_not1_b32 s28, s28, exec_lo
	s_and_b32 s37, s37, exec_lo
	s_mov_b32 vcc_lo, -1
	s_or_b32 s28, s28, s37
	s_and_saveexec_b32 s37, s36
	s_cbranch_execz .LBB2_1288
; %bb.1291:                             ;   in Loop: Header=BB2_1289 Depth=3
	s_sleep 1
	s_cbranch_execnz .LBB2_1885
; %bb.1292:                             ;   in Loop: Header=BB2_1289 Depth=3
	ds_load_b64 v[48:49], v0
	s_and_not1_b32 s28, s28, exec_lo
	s_waitcnt lgkmcnt(0)
	v_cmp_ge_u64_e32 vcc_lo, v[48:49], v[12:13]
	s_or_not1_b32 vcc_lo, vcc_lo, exec_lo
	s_branch .LBB2_1288
.LBB2_1293:                             ;   in Loop: Header=BB2_1289 Depth=3
	s_cbranch_execnz .LBB2_1897
; %bb.1294:                             ;   in Loop: Header=BB2_1289 Depth=3
	ds_load_b64 v[48:49], v0
	s_and_not1_b32 s36, s36, exec_lo
	s_mov_b32 s35, 0
	s_mov_b32 s37, -1
	s_waitcnt lgkmcnt(0)
	flat_load_b32 v2, v[48:49] glc
	s_waitcnt vmcnt(0) lgkmcnt(0)
	buffer_gl1_inv
	buffer_gl0_inv
	v_cmp_eq_u32_e32 vcc_lo, 0, v2
	s_and_b32 vcc_lo, vcc_lo, exec_lo
	s_delay_alu instid0(SALU_CYCLE_1)
	s_or_b32 s36, s36, vcc_lo
	s_branch .LBB2_1290
.LBB2_1295:                             ;   in Loop: Header=BB2_1172 Depth=2
	s_or_b32 exec_lo, exec_lo, s14
	s_and_saveexec_b32 s14, s20
	s_delay_alu instid0(SALU_CYCLE_1)
	s_xor_b32 s14, exec_lo, s14
	s_cbranch_execz .LBB2_1297
; %bb.1296:                             ;   in Loop: Header=BB2_1172 Depth=2
	ds_store_b32 v0, v118
	s_cbranch_execnz .LBB2_1951
.LBB2_1297:                             ;   in Loop: Header=BB2_1172 Depth=2
	s_or_b32 exec_lo, exec_lo, s13
	;;#ASMSTART
	s_wakeup
	;;#ASMEND
.LBB2_1298:                             ;   in Loop: Header=BB2_1172 Depth=2
	s_or_b32 exec_lo, exec_lo, s12
.LBB2_1299:                             ;   in Loop: Header=BB2_1172 Depth=2
	s_and_not1_saveexec_b32 s10, s10
	s_cbranch_execz .LBB2_1301
; %bb.1300:                             ;   in Loop: Header=BB2_1172 Depth=2
	s_waitcnt lgkmcnt(0)
	s_waitcnt_vscnt null, 0x0
	buffer_gl1_inv
	buffer_gl0_inv
	s_barrier
.LBB2_1301:                             ;   in Loop: Header=BB2_1172 Depth=2
	s_or_b32 exec_lo, exec_lo, s10
.LBB2_1302:                             ;   in Loop: Header=BB2_1172 Depth=2
	s_delay_alu instid0(SALU_CYCLE_1) | instskip(SKIP_1) | instid1(SALU_CYCLE_1)
	s_or_b32 exec_lo, exec_lo, s5
	s_and_saveexec_b32 s5, s7
	s_xor_b32 s5, exec_lo, s5
	s_cbranch_execz .LBB2_1306
; %bb.1303:                             ;   in Loop: Header=BB2_1172 Depth=2
	v_and_b32_e32 v2, 16, v30
	v_cmp_lt_i32_e32 vcc_lo, 0, v9
	s_delay_alu instid0(VALU_DEP_2) | instskip(NEXT) | instid1(VALU_DEP_1)
	v_cmp_ne_u32_e64 s13, 0, v2
	s_and_b32 s12, s13, vcc_lo
	s_delay_alu instid0(SALU_CYCLE_1)
	s_and_saveexec_b32 s10, s12
	s_cbranch_execz .LBB2_1305
; %bb.1304:                             ;   in Loop: Header=BB2_1172 Depth=2
	s_waitcnt lgkmcnt(0)
	s_waitcnt_vscnt null, 0x0
	buffer_gl1_inv
	buffer_gl0_inv
.LBB2_1305:                             ;   in Loop: Header=BB2_1172 Depth=2
	s_or_b32 exec_lo, exec_lo, s10
.LBB2_1306:                             ;   in Loop: Header=BB2_1172 Depth=2
	s_and_not1_saveexec_b32 s5, s5
	s_cbranch_execz .LBB2_1328
; %bb.1307:                             ;   in Loop: Header=BB2_1172 Depth=2
	s_and_saveexec_b32 s10, s4
	s_delay_alu instid0(SALU_CYCLE_1)
	s_xor_b32 s10, exec_lo, s10
	s_cbranch_execz .LBB2_1325
; %bb.1308:                             ;   in Loop: Header=BB2_1172 Depth=2
	s_and_saveexec_b32 s12, s1
	s_cbranch_execz .LBB2_1324
; %bb.1309:                             ;   in Loop: Header=BB2_1172 Depth=2
	s_mov_b32 s14, exec_lo
	s_mov_b32 s13, exec_lo
	v_mbcnt_lo_u32_b32 v2, s14, 0
	;;#ASMSTART
	s_waitcnt lgkmcnt(0) vmcnt(0)
	;;#ASMEND
	s_delay_alu instid0(VALU_DEP_1)
	v_cmpx_eq_u32_e32 0, v2
	s_cbranch_execz .LBB2_1311
; %bb.1310:                             ;   in Loop: Header=BB2_1172 Depth=2
	s_bcnt1_i32_b32 s14, s14
	s_delay_alu instid0(SALU_CYCLE_1)
	v_mov_b32_e32 v2, s14
	ds_add_u64 v0, v[2:3]
	s_cbranch_execnz .LBB2_1859
.LBB2_1311:                             ;   in Loop: Header=BB2_1172 Depth=2
	s_or_b32 exec_lo, exec_lo, s13
	s_cbranch_execnz .LBB2_1839
; %bb.1312:                             ;   in Loop: Header=BB2_1172 Depth=2
	ds_load_b64 v[48:49], v0
	v_add_co_u32 v12, vcc_lo, v12, v85
	v_add_co_ci_u32_e32 v13, vcc_lo, 0, v13, vcc_lo
	s_mov_b32 s13, exec_lo
	s_waitcnt lgkmcnt(0)
	s_delay_alu instid0(VALU_DEP_1)
	v_cmpx_lt_u64_e64 v[48:49], v[12:13]
	s_cbranch_execz .LBB2_1323
; %bb.1313:                             ;   in Loop: Header=BB2_1172 Depth=2
	s_mov_b32 s14, 0
	s_mov_b32 s35, 0
                                        ; implicit-def: $sgpr20
                                        ; implicit-def: $sgpr28
	s_branch .LBB2_1315
.LBB2_1314:                             ;   in Loop: Header=BB2_1315 Depth=3
	s_or_b32 exec_lo, exec_lo, s37
	s_delay_alu instid0(SALU_CYCLE_1) | instskip(NEXT) | instid1(SALU_CYCLE_1)
	s_and_b32 vcc_lo, exec_lo, vcc_lo
	s_or_b32 s14, vcc_lo, s14
	s_and_not1_b32 s20, s20, exec_lo
	s_and_b32 vcc_lo, s28, exec_lo
	s_delay_alu instid0(SALU_CYCLE_1)
	s_or_b32 s20, s20, vcc_lo
	s_and_not1_b32 exec_lo, exec_lo, s14
	s_cbranch_execz .LBB2_1321
.LBB2_1315:                             ;   Parent Loop BB2_51 Depth=1
                                        ;     Parent Loop BB2_1172 Depth=2
                                        ; =>    This Inner Loop Header: Depth=3
	s_add_i32 s35, s35, 1
                                        ; implicit-def: $sgpr37
	s_delay_alu instid0(SALU_CYCLE_1) | instskip(SKIP_1) | instid1(SALU_CYCLE_1)
	s_cmpk_lg_i32 s35, 0x2710
	s_cselect_b32 s36, -1, 0
	s_and_b32 vcc_lo, exec_lo, s36
	s_cbranch_vccz .LBB2_1319
.LBB2_1316:                             ;   in Loop: Header=BB2_1315 Depth=3
	s_and_not1_b32 s28, s28, exec_lo
	s_and_b32 s37, s37, exec_lo
	s_mov_b32 vcc_lo, -1
	s_or_b32 s28, s28, s37
	s_and_saveexec_b32 s37, s36
	s_cbranch_execz .LBB2_1314
; %bb.1317:                             ;   in Loop: Header=BB2_1315 Depth=3
	s_sleep 1
	s_cbranch_execnz .LBB2_1891
; %bb.1318:                             ;   in Loop: Header=BB2_1315 Depth=3
	ds_load_b64 v[48:49], v0
	s_and_not1_b32 s28, s28, exec_lo
	s_waitcnt lgkmcnt(0)
	v_cmp_ge_u64_e32 vcc_lo, v[48:49], v[12:13]
	s_or_not1_b32 vcc_lo, vcc_lo, exec_lo
	s_branch .LBB2_1314
.LBB2_1319:                             ;   in Loop: Header=BB2_1315 Depth=3
	s_cbranch_execnz .LBB2_1905
; %bb.1320:                             ;   in Loop: Header=BB2_1315 Depth=3
	ds_load_b64 v[48:49], v0
	s_and_not1_b32 s36, s36, exec_lo
	s_mov_b32 s35, 0
	s_mov_b32 s37, -1
	s_waitcnt lgkmcnt(0)
	s_waitcnt_vscnt null, 0x0
	flat_load_b32 v2, v[48:49] glc
	s_waitcnt vmcnt(0) lgkmcnt(0)
	buffer_gl1_inv
	buffer_gl0_inv
	v_cmp_eq_u32_e32 vcc_lo, 0, v2
	s_and_b32 vcc_lo, vcc_lo, exec_lo
	s_delay_alu instid0(SALU_CYCLE_1)
	s_or_b32 s36, s36, vcc_lo
	s_branch .LBB2_1316
.LBB2_1321:                             ;   in Loop: Header=BB2_1172 Depth=2
	s_or_b32 exec_lo, exec_lo, s14
	s_and_saveexec_b32 s14, s20
	s_delay_alu instid0(SALU_CYCLE_1)
	s_xor_b32 s14, exec_lo, s14
	s_cbranch_execz .LBB2_1323
; %bb.1322:                             ;   in Loop: Header=BB2_1172 Depth=2
	ds_store_b32 v0, v118
	s_cbranch_execnz .LBB2_1953
.LBB2_1323:                             ;   in Loop: Header=BB2_1172 Depth=2
	s_or_b32 exec_lo, exec_lo, s13
	;;#ASMSTART
	s_wakeup
	;;#ASMEND
.LBB2_1324:                             ;   in Loop: Header=BB2_1172 Depth=2
	s_or_b32 exec_lo, exec_lo, s12
.LBB2_1325:                             ;   in Loop: Header=BB2_1172 Depth=2
	s_and_not1_saveexec_b32 s10, s10
	s_cbranch_execz .LBB2_1327
; %bb.1326:                             ;   in Loop: Header=BB2_1172 Depth=2
	;;#ASMSTART
	s_waitcnt lgkmcnt(0) vmcnt(0)
	;;#ASMEND
	s_waitcnt lgkmcnt(0)
	s_waitcnt_vscnt null, 0x0
	s_barrier
.LBB2_1327:                             ;   in Loop: Header=BB2_1172 Depth=2
	s_or_b32 exec_lo, exec_lo, s10
.LBB2_1328:                             ;   in Loop: Header=BB2_1172 Depth=2
	s_delay_alu instid0(SALU_CYCLE_1) | instskip(SKIP_2) | instid1(VALU_DEP_1)
	s_or_b32 exec_lo, exec_lo, s5
	v_and_b32_e32 v2, 32, v30
	s_mov_b32 s5, exec_lo
	v_cmpx_ne_u32_e32 0, v2
	s_cbranch_execz .LBB2_1330
; %bb.1329:                             ;   in Loop: Header=BB2_1172 Depth=2
	v_add_co_u32 v22, vcc_lo, v22, 2
	v_add_co_ci_u32_e32 v23, vcc_lo, 0, v23, vcc_lo
	s_waitcnt lgkmcnt(0)
	s_waitcnt_vscnt null, 0x0
	flat_store_b64 v[20:21], v[22:23]
.LBB2_1330:                             ;   in Loop: Header=BB2_1172 Depth=2
	s_or_b32 exec_lo, exec_lo, s5
	v_add_nc_u32_e32 v8, v53, v8
	s_xor_b32 s5, s31, -1
	v_mov_b32_e32 v2, s34
	s_mov_b32 s31, 0
	s_mov_b32 s34, 2
	v_cmp_ge_i32_e32 vcc_lo, v8, v52
	s_or_b32 s5, s5, vcc_lo
	s_delay_alu instid0(SALU_CYCLE_1) | instskip(NEXT) | instid1(SALU_CYCLE_1)
	s_and_b32 s5, exec_lo, s5
	s_or_b32 s30, s5, s30
	s_delay_alu instid0(SALU_CYCLE_1)
	s_and_not1_b32 exec_lo, exec_lo, s30
	s_cbranch_execnz .LBB2_1172
; %bb.1331:                             ;   in Loop: Header=BB2_51 Depth=1
	s_or_b32 exec_lo, exec_lo, s30
.LBB2_1332:                             ;   in Loop: Header=BB2_51 Depth=1
	s_delay_alu instid0(SALU_CYCLE_1) | instskip(NEXT) | instid1(SALU_CYCLE_1)
	s_or_b32 exec_lo, exec_lo, s15
	s_mov_b32 s10, exec_lo
	v_cmpx_gt_i32_e32 2, v2
	s_cbranch_execz .LBB2_1411
; %bb.1333:                             ;   in Loop: Header=BB2_51 Depth=1
	v_cmp_eq_u32_e64 s5, 0, v2
	s_mov_b32 s12, 0
.LBB2_1334:                             ;   Parent Loop BB2_51 Depth=1
                                        ; =>  This Loop Header: Depth=2
                                        ;       Child Loop BB2_1340 Depth 3
                                        ;       Child Loop BB2_1367 Depth 3
	;; [unrolled: 1-line block ×3, first 2 shown]
	v_and_b32_e32 v2, 4, v30
	s_mov_b32 s14, -1
	s_mov_b32 s13, exec_lo
	s_delay_alu instid0(VALU_DEP_1)
	v_cmpx_ne_u32_e32 0, v2
	s_cbranch_execz .LBB2_1348
; %bb.1335:                             ;   in Loop: Header=BB2_1334 Depth=2
	v_add_co_u32 v9, vcc_lo, v22, 2
	v_add_co_ci_u32_e32 v10, vcc_lo, 0, v23, vcc_lo
	v_mov_b32_e32 v2, 1
	s_mov_b32 s14, exec_lo
	s_delay_alu instid0(VALU_DEP_2)
	v_cmpx_lt_u64_e64 v[28:29], v[9:10]
	s_cbranch_execz .LBB2_1347
; %bb.1336:                             ;   in Loop: Header=BB2_1334 Depth=2
	v_mov_b32_e32 v2, 0
	s_mov_b32 s15, 0
                                        ; implicit-def: $sgpr20
	s_branch .LBB2_1340
.LBB2_1337:                             ;   in Loop: Header=BB2_1340 Depth=3
	s_or_b32 exec_lo, exec_lo, s34
	v_mov_b32_e32 v11, 0
	s_or_not1_b32 s31, s31, exec_lo
.LBB2_1338:                             ;   in Loop: Header=BB2_1340 Depth=3
	s_or_b32 exec_lo, exec_lo, s30
	s_delay_alu instid0(VALU_DEP_1) | instskip(SKIP_2) | instid1(SALU_CYCLE_1)
	v_mov_b32_e32 v2, v11
	s_and_not1_b32 s20, s20, exec_lo
	s_and_b32 vcc_lo, s31, exec_lo
	s_or_b32 s20, s20, vcc_lo
.LBB2_1339:                             ;   in Loop: Header=BB2_1340 Depth=3
	s_or_b32 exec_lo, exec_lo, s28
	s_waitcnt vmcnt(0) lgkmcnt(0)
	v_cmp_ge_u64_e32 vcc_lo, v[28:29], v[9:10]
	s_xor_b32 s28, s20, -1
	s_delay_alu instid0(SALU_CYCLE_1) | instskip(NEXT) | instid1(SALU_CYCLE_1)
	s_or_b32 s28, s28, vcc_lo
	s_and_b32 s28, exec_lo, s28
	s_delay_alu instid0(SALU_CYCLE_1) | instskip(NEXT) | instid1(SALU_CYCLE_1)
	s_or_b32 s15, s28, s15
	s_and_not1_b32 exec_lo, exec_lo, s15
	s_cbranch_execz .LBB2_1346
.LBB2_1340:                             ;   Parent Loop BB2_51 Depth=1
                                        ;     Parent Loop BB2_1334 Depth=2
                                        ; =>    This Inner Loop Header: Depth=3
	s_sleep 1
	flat_load_b64 v[28:29], v[20:21] glc
	v_and_b32_e32 v11, 64, v30
	s_and_not1_b32 s20, s20, exec_lo
	s_mov_b32 s28, exec_lo
	s_delay_alu instid0(VALU_DEP_1)
	v_cmpx_eq_u32_e32 0, v11
	s_cbranch_execz .LBB2_1339
; %bb.1341:                             ;   in Loop: Header=BB2_1340 Depth=3
	v_add_nc_u32_e32 v11, 1, v2
	s_mov_b32 s31, -1
	s_mov_b32 s30, exec_lo
	v_cmpx_lt_i32_e32 0x270e, v2
	s_cbranch_execz .LBB2_1338
; %bb.1342:                             ;   in Loop: Header=BB2_1340 Depth=3
	s_cbranch_execnz .LBB2_1625
; %bb.1343:                             ;   in Loop: Header=BB2_1340 Depth=3
	ds_load_b64 v[48:49], v0
	s_mov_b32 s34, exec_lo
	s_waitcnt vmcnt(0) lgkmcnt(0)
	s_waitcnt_vscnt null, 0x0
	flat_load_b32 v2, v[48:49] glc
	s_waitcnt vmcnt(0) lgkmcnt(0)
	buffer_gl1_inv
	buffer_gl0_inv
	v_cmpx_ne_u32_e32 0, v2
	s_cbranch_execz .LBB2_1337
; %bb.1344:                             ;   in Loop: Header=BB2_1340 Depth=3
	ds_store_b32 v0, v2
	s_cbranch_execnz .LBB2_1699
; %bb.1345:                             ;   in Loop: Header=BB2_1340 Depth=3
	v_or_b32_e32 v30, 64, v30
	s_xor_b32 s31, exec_lo, -1
	s_branch .LBB2_1337
.LBB2_1346:                             ;   in Loop: Header=BB2_1334 Depth=2
	s_or_b32 exec_lo, exec_lo, s15
	v_and_b32_e32 v2, 4, v30
.LBB2_1347:                             ;   in Loop: Header=BB2_1334 Depth=2
	s_or_b32 exec_lo, exec_lo, s14
	s_delay_alu instid0(VALU_DEP_1)
	v_cmp_eq_u32_e32 vcc_lo, 0, v2
	;;#ASMSTART
	s_wakeup
	;;#ASMEND
	s_or_not1_b32 s14, vcc_lo, exec_lo
.LBB2_1348:                             ;   in Loop: Header=BB2_1334 Depth=2
	s_or_b32 exec_lo, exec_lo, s13
	s_xor_b32 s5, s5, -1
	s_delay_alu instid0(SALU_CYCLE_1) | instskip(NEXT) | instid1(SALU_CYCLE_1)
	s_and_b32 s5, exec_lo, s5
	s_or_b32 s12, s5, s12
	s_xor_b32 s13, s14, -1
	s_delay_alu instid0(SALU_CYCLE_1)
	s_and_saveexec_b32 s5, s13
	s_cbranch_execz .LBB2_1358
; %bb.1349:                             ;   in Loop: Header=BB2_1334 Depth=2
	v_and_b32_e32 v2, 0x100, v30
	s_mov_b32 s13, -1
                                        ; implicit-def: $vgpr9_vgpr10
	s_delay_alu instid0(VALU_DEP_1)
	v_cmp_ne_u32_e32 vcc_lo, 0, v2
	v_and_b32_e32 v2, 7, v22
	s_and_saveexec_b32 s14, vcc_lo
	s_cbranch_execz .LBB2_1353
; %bb.1350:                             ;   in Loop: Header=BB2_1334 Depth=2
	s_delay_alu instid0(VALU_DEP_1) | instskip(SKIP_4) | instid1(VALU_DEP_1)
	v_mad_u64_u32 v[48:49], null, v2, 24, v[6:7]
	flat_load_b32 v9, v[48:49]
	s_waitcnt vmcnt(0) lgkmcnt(0)
	v_cmp_ne_u32_e32 vcc_lo, 1, v9
	v_cmp_eq_u32_e64 s13, 1, v9
                                        ; implicit-def: $vgpr9_vgpr10
	s_and_saveexec_b32 s15, s13
	s_cbranch_execz .LBB2_1352
; %bb.1351:                             ;   in Loop: Header=BB2_1334 Depth=2
	flat_load_b32 v9, v[48:49] offset:4 glc
	s_waitcnt vmcnt(0) lgkmcnt(0)
	v_ashrrev_i32_e32 v10, 31, v9
	s_delay_alu instid0(VALU_DEP_1)
	v_lshrrev_b64 v[9:10], 3, v[9:10]
.LBB2_1352:                             ;   in Loop: Header=BB2_1334 Depth=2
	s_or_b32 exec_lo, exec_lo, s15
	s_delay_alu instid0(SALU_CYCLE_1)
	s_or_not1_b32 s13, vcc_lo, exec_lo
.LBB2_1353:                             ;   in Loop: Header=BB2_1334 Depth=2
	s_or_b32 exec_lo, exec_lo, s14
	s_and_saveexec_b32 s14, s13
; %bb.1354:                             ;   in Loop: Header=BB2_1334 Depth=2
	v_mad_i64_i32 v[9:10], null, v2, v83, 0
; %bb.1355:                             ;   in Loop: Header=BB2_1334 Depth=2
	s_or_b32 exec_lo, exec_lo, s14
	s_delay_alu instid0(VALU_DEP_1) | instskip(SKIP_2) | instid1(VALU_DEP_2)
	v_lshlrev_b64 v[9:10], 3, v[9:10]
	v_and_b32_e32 v2, 0x2000, v30
	s_mov_b32 s13, exec_lo
	v_add_co_u32 v9, vcc_lo, v24, v9
	s_delay_alu instid0(VALU_DEP_3)
	v_add_co_ci_u32_e32 v10, vcc_lo, v25, v10, vcc_lo
	ds_store_b64 v0, v[9:10] offset:720
	v_cmpx_ne_u32_e32 0, v2
	s_cbranch_execz .LBB2_1357
; %bb.1356:                             ;   in Loop: Header=BB2_1334 Depth=2
	ds_load_b64 v[9:10], v0 offset:584
	s_waitcnt lgkmcnt(0)
	v_add_co_u32 v9, vcc_lo, v9, 1
	v_add_co_ci_u32_e32 v10, vcc_lo, 0, v10, vcc_lo
	ds_store_b64 v0, v[9:10] offset:584
.LBB2_1357:                             ;   in Loop: Header=BB2_1334 Depth=2
	s_or_b32 exec_lo, exec_lo, s13
	v_add_co_u32 v22, vcc_lo, v22, 2
	v_add_co_ci_u32_e32 v23, vcc_lo, 0, v23, vcc_lo
.LBB2_1358:                             ;   in Loop: Header=BB2_1334 Depth=2
	s_or_b32 exec_lo, exec_lo, s5
	s_and_saveexec_b32 s5, s3
	s_cbranch_execz .LBB2_1380
; %bb.1359:                             ;   in Loop: Header=BB2_1334 Depth=2
	s_and_saveexec_b32 s13, s4
	s_delay_alu instid0(SALU_CYCLE_1)
	s_xor_b32 s13, exec_lo, s13
	s_cbranch_execz .LBB2_1377
; %bb.1360:                             ;   in Loop: Header=BB2_1334 Depth=2
	s_and_saveexec_b32 s14, s1
	s_cbranch_execz .LBB2_1376
; %bb.1361:                             ;   in Loop: Header=BB2_1334 Depth=2
	s_mov_b32 s20, exec_lo
	s_mov_b32 s15, exec_lo
	v_mbcnt_lo_u32_b32 v2, s20, 0
	s_waitcnt lgkmcnt(0)
	s_waitcnt_vscnt null, 0x0
	buffer_gl1_inv
	buffer_gl0_inv
	v_cmpx_eq_u32_e32 0, v2
	s_cbranch_execz .LBB2_1363
; %bb.1362:                             ;   in Loop: Header=BB2_1334 Depth=2
	s_bcnt1_i32_b32 s20, s20
	s_delay_alu instid0(SALU_CYCLE_1)
	v_mov_b32_e32 v2, s20
	ds_add_u64 v0, v[2:3]
	s_cbranch_execnz .LBB2_1733
.LBB2_1363:                             ;   in Loop: Header=BB2_1334 Depth=2
	s_or_b32 exec_lo, exec_lo, s15
	s_cbranch_execnz .LBB2_1707
; %bb.1364:                             ;   in Loop: Header=BB2_1334 Depth=2
	ds_load_b64 v[9:10], v0
	v_add_co_u32 v12, vcc_lo, v12, v85
	v_add_co_ci_u32_e32 v13, vcc_lo, 0, v13, vcc_lo
	s_mov_b32 s15, exec_lo
	s_waitcnt lgkmcnt(0)
	s_delay_alu instid0(VALU_DEP_1)
	v_cmpx_lt_u64_e64 v[9:10], v[12:13]
	s_cbranch_execz .LBB2_1375
; %bb.1365:                             ;   in Loop: Header=BB2_1334 Depth=2
	s_mov_b32 s20, 0
	s_mov_b32 s31, 0
                                        ; implicit-def: $sgpr28
                                        ; implicit-def: $sgpr30
	s_branch .LBB2_1367
.LBB2_1366:                             ;   in Loop: Header=BB2_1367 Depth=3
	s_or_b32 exec_lo, exec_lo, s35
	s_delay_alu instid0(SALU_CYCLE_1) | instskip(NEXT) | instid1(SALU_CYCLE_1)
	s_and_b32 vcc_lo, exec_lo, vcc_lo
	s_or_b32 s20, vcc_lo, s20
	s_and_not1_b32 s28, s28, exec_lo
	s_and_b32 vcc_lo, s30, exec_lo
	s_delay_alu instid0(SALU_CYCLE_1)
	s_or_b32 s28, s28, vcc_lo
	s_and_not1_b32 exec_lo, exec_lo, s20
	s_cbranch_execz .LBB2_1373
.LBB2_1367:                             ;   Parent Loop BB2_51 Depth=1
                                        ;     Parent Loop BB2_1334 Depth=2
                                        ; =>    This Inner Loop Header: Depth=3
	s_add_i32 s31, s31, 1
                                        ; implicit-def: $sgpr35
	s_delay_alu instid0(SALU_CYCLE_1) | instskip(SKIP_1) | instid1(SALU_CYCLE_1)
	s_cmpk_lg_i32 s31, 0x2710
	s_cselect_b32 s34, -1, 0
	s_and_b32 vcc_lo, exec_lo, s34
	s_cbranch_vccz .LBB2_1371
.LBB2_1368:                             ;   in Loop: Header=BB2_1367 Depth=3
	s_and_not1_b32 s30, s30, exec_lo
	s_and_b32 s35, s35, exec_lo
	s_mov_b32 vcc_lo, -1
	s_or_b32 s30, s30, s35
	s_and_saveexec_b32 s35, s34
	s_cbranch_execz .LBB2_1366
; %bb.1369:                             ;   in Loop: Header=BB2_1367 Depth=3
	s_sleep 1
	s_cbranch_execnz .LBB2_1785
; %bb.1370:                             ;   in Loop: Header=BB2_1367 Depth=3
	ds_load_b64 v[9:10], v0
	s_and_not1_b32 s30, s30, exec_lo
	s_waitcnt lgkmcnt(0)
	v_cmp_ge_u64_e32 vcc_lo, v[9:10], v[12:13]
	s_or_not1_b32 vcc_lo, vcc_lo, exec_lo
	s_branch .LBB2_1366
.LBB2_1371:                             ;   in Loop: Header=BB2_1367 Depth=3
	s_cbranch_execnz .LBB2_1803
; %bb.1372:                             ;   in Loop: Header=BB2_1367 Depth=3
	ds_load_b64 v[9:10], v0
	s_and_not1_b32 s34, s34, exec_lo
	s_mov_b32 s31, 0
	s_mov_b32 s35, -1
	s_waitcnt lgkmcnt(0)
	flat_load_b32 v2, v[9:10] glc
	s_waitcnt vmcnt(0) lgkmcnt(0)
	buffer_gl1_inv
	buffer_gl0_inv
	v_cmp_eq_u32_e32 vcc_lo, 0, v2
	s_and_b32 vcc_lo, vcc_lo, exec_lo
	s_delay_alu instid0(SALU_CYCLE_1)
	s_or_b32 s34, s34, vcc_lo
	s_branch .LBB2_1368
.LBB2_1373:                             ;   in Loop: Header=BB2_1334 Depth=2
	s_or_b32 exec_lo, exec_lo, s20
	s_and_saveexec_b32 s20, s28
	s_delay_alu instid0(SALU_CYCLE_1)
	s_xor_b32 s20, exec_lo, s20
	s_cbranch_execz .LBB2_1375
; %bb.1374:                             ;   in Loop: Header=BB2_1334 Depth=2
	ds_store_b32 v0, v118
	s_cbranch_execnz .LBB2_1927
.LBB2_1375:                             ;   in Loop: Header=BB2_1334 Depth=2
	s_or_b32 exec_lo, exec_lo, s15
	;;#ASMSTART
	s_wakeup
	;;#ASMEND
.LBB2_1376:                             ;   in Loop: Header=BB2_1334 Depth=2
	s_or_b32 exec_lo, exec_lo, s14
.LBB2_1377:                             ;   in Loop: Header=BB2_1334 Depth=2
	s_and_not1_saveexec_b32 s13, s13
	s_cbranch_execz .LBB2_1379
; %bb.1378:                             ;   in Loop: Header=BB2_1334 Depth=2
	s_waitcnt lgkmcnt(0)
	s_waitcnt_vscnt null, 0x0
	buffer_gl1_inv
	buffer_gl0_inv
	s_barrier
.LBB2_1379:                             ;   in Loop: Header=BB2_1334 Depth=2
	s_or_b32 exec_lo, exec_lo, s13
.LBB2_1380:                             ;   in Loop: Header=BB2_1334 Depth=2
	s_delay_alu instid0(SALU_CYCLE_1) | instskip(SKIP_1) | instid1(VALU_DEP_1)
	s_or_b32 exec_lo, exec_lo, s5
	v_sub_nc_u32_e32 v2, v52, v8
	v_min_i32_e32 v53, v53, v2
	s_and_saveexec_b32 s5, s7
	s_delay_alu instid0(SALU_CYCLE_1)
	s_xor_b32 s5, exec_lo, s5
	s_cbranch_execz .LBB2_1385
; %bb.1381:                             ;   in Loop: Header=BB2_1334 Depth=2
	s_cbranch_execnz .LBB2_1621
; %bb.1382:                             ;   in Loop: Header=BB2_1334 Depth=2
	ds_load_b32 v2, v0
	v_cmp_lt_i32_e32 vcc_lo, 0, v53
	s_waitcnt lgkmcnt(0)
	v_readfirstlane_b32 s13, v2
	v_and_b32_e32 v2, 16, v30
	s_delay_alu instid0(VALU_DEP_2) | instskip(NEXT) | instid1(VALU_DEP_1)
	s_cmp_eq_u32 s13, 0
	v_cmp_ne_u32_e64 s13, 0, v2
	s_cselect_b32 s14, -1, 0
	s_delay_alu instid0(SALU_CYCLE_1)
	s_and_b32 s14, vcc_lo, s14
	s_delay_alu instid0(VALU_DEP_1) | instid1(SALU_CYCLE_1)
	s_and_b32 s14, s13, s14
	s_delay_alu instid0(SALU_CYCLE_1)
	s_and_saveexec_b32 s13, s14
	s_cbranch_execz .LBB2_1384
; %bb.1383:                             ;   in Loop: Header=BB2_1334 Depth=2
	s_waitcnt_vscnt null, 0x0
	buffer_gl1_inv
	buffer_gl0_inv
.LBB2_1384:                             ;   in Loop: Header=BB2_1334 Depth=2
	s_or_b32 exec_lo, exec_lo, s13
.LBB2_1385:                             ;   in Loop: Header=BB2_1334 Depth=2
	s_and_not1_saveexec_b32 s5, s5
	s_cbranch_execz .LBB2_1407
; %bb.1386:                             ;   in Loop: Header=BB2_1334 Depth=2
	s_and_saveexec_b32 s13, s4
	s_delay_alu instid0(SALU_CYCLE_1)
	s_xor_b32 s13, exec_lo, s13
	s_cbranch_execz .LBB2_1404
; %bb.1387:                             ;   in Loop: Header=BB2_1334 Depth=2
	s_and_saveexec_b32 s14, s1
	s_cbranch_execz .LBB2_1403
; %bb.1388:                             ;   in Loop: Header=BB2_1334 Depth=2
	s_mov_b32 s20, exec_lo
	s_mov_b32 s15, exec_lo
	v_mbcnt_lo_u32_b32 v2, s20, 0
	;;#ASMSTART
	s_waitcnt lgkmcnt(0) vmcnt(0)
	;;#ASMEND
	s_delay_alu instid0(VALU_DEP_1)
	v_cmpx_eq_u32_e32 0, v2
	s_cbranch_execz .LBB2_1390
; %bb.1389:                             ;   in Loop: Header=BB2_1334 Depth=2
	s_bcnt1_i32_b32 s20, s20
	s_delay_alu instid0(SALU_CYCLE_1)
	v_mov_b32_e32 v2, s20
	ds_add_u64 v0, v[2:3]
	s_cbranch_execnz .LBB2_1759
.LBB2_1390:                             ;   in Loop: Header=BB2_1334 Depth=2
	s_or_b32 exec_lo, exec_lo, s15
	s_cbranch_execnz .LBB2_1731
; %bb.1391:                             ;   in Loop: Header=BB2_1334 Depth=2
	ds_load_b64 v[9:10], v0
	v_add_co_u32 v12, vcc_lo, v12, v85
	v_add_co_ci_u32_e32 v13, vcc_lo, 0, v13, vcc_lo
	s_mov_b32 s15, exec_lo
	s_waitcnt lgkmcnt(0)
	s_delay_alu instid0(VALU_DEP_1)
	v_cmpx_lt_u64_e64 v[9:10], v[12:13]
	s_cbranch_execz .LBB2_1402
; %bb.1392:                             ;   in Loop: Header=BB2_1334 Depth=2
	s_mov_b32 s20, 0
	s_mov_b32 s31, 0
                                        ; implicit-def: $sgpr28
                                        ; implicit-def: $sgpr30
	s_branch .LBB2_1394
.LBB2_1393:                             ;   in Loop: Header=BB2_1394 Depth=3
	s_or_b32 exec_lo, exec_lo, s35
	s_delay_alu instid0(SALU_CYCLE_1) | instskip(NEXT) | instid1(SALU_CYCLE_1)
	s_and_b32 vcc_lo, exec_lo, vcc_lo
	s_or_b32 s20, vcc_lo, s20
	s_and_not1_b32 s28, s28, exec_lo
	s_and_b32 vcc_lo, s30, exec_lo
	s_delay_alu instid0(SALU_CYCLE_1)
	s_or_b32 s28, s28, vcc_lo
	s_and_not1_b32 exec_lo, exec_lo, s20
	s_cbranch_execz .LBB2_1400
.LBB2_1394:                             ;   Parent Loop BB2_51 Depth=1
                                        ;     Parent Loop BB2_1334 Depth=2
                                        ; =>    This Inner Loop Header: Depth=3
	s_add_i32 s31, s31, 1
                                        ; implicit-def: $sgpr35
	s_delay_alu instid0(SALU_CYCLE_1) | instskip(SKIP_1) | instid1(SALU_CYCLE_1)
	s_cmpk_lg_i32 s31, 0x2710
	s_cselect_b32 s34, -1, 0
	s_and_b32 vcc_lo, exec_lo, s34
	s_cbranch_vccz .LBB2_1398
.LBB2_1395:                             ;   in Loop: Header=BB2_1394 Depth=3
	s_and_not1_b32 s30, s30, exec_lo
	s_and_b32 s35, s35, exec_lo
	s_mov_b32 vcc_lo, -1
	s_or_b32 s30, s30, s35
	s_and_saveexec_b32 s35, s34
	s_cbranch_execz .LBB2_1393
; %bb.1396:                             ;   in Loop: Header=BB2_1394 Depth=3
	s_sleep 1
	s_cbranch_execnz .LBB2_1813
; %bb.1397:                             ;   in Loop: Header=BB2_1394 Depth=3
	ds_load_b64 v[9:10], v0
	s_and_not1_b32 s30, s30, exec_lo
	s_waitcnt lgkmcnt(0)
	v_cmp_ge_u64_e32 vcc_lo, v[9:10], v[12:13]
	s_or_not1_b32 vcc_lo, vcc_lo, exec_lo
	s_branch .LBB2_1393
.LBB2_1398:                             ;   in Loop: Header=BB2_1394 Depth=3
	s_cbranch_execnz .LBB2_1835
; %bb.1399:                             ;   in Loop: Header=BB2_1394 Depth=3
	ds_load_b64 v[9:10], v0
	s_and_not1_b32 s34, s34, exec_lo
	s_mov_b32 s31, 0
	s_mov_b32 s35, -1
	s_waitcnt lgkmcnt(0)
	s_waitcnt_vscnt null, 0x0
	flat_load_b32 v2, v[9:10] glc
	s_waitcnt vmcnt(0) lgkmcnt(0)
	buffer_gl1_inv
	buffer_gl0_inv
	v_cmp_eq_u32_e32 vcc_lo, 0, v2
	s_and_b32 vcc_lo, vcc_lo, exec_lo
	s_delay_alu instid0(SALU_CYCLE_1)
	s_or_b32 s34, s34, vcc_lo
	s_branch .LBB2_1395
.LBB2_1400:                             ;   in Loop: Header=BB2_1334 Depth=2
	s_or_b32 exec_lo, exec_lo, s20
	s_and_saveexec_b32 s20, s28
	s_delay_alu instid0(SALU_CYCLE_1)
	s_xor_b32 s20, exec_lo, s20
	s_cbranch_execz .LBB2_1402
; %bb.1401:                             ;   in Loop: Header=BB2_1334 Depth=2
	ds_store_b32 v0, v118
	s_cbranch_execnz .LBB2_1939
.LBB2_1402:                             ;   in Loop: Header=BB2_1334 Depth=2
	s_or_b32 exec_lo, exec_lo, s15
	;;#ASMSTART
	s_wakeup
	;;#ASMEND
.LBB2_1403:                             ;   in Loop: Header=BB2_1334 Depth=2
	s_or_b32 exec_lo, exec_lo, s14
.LBB2_1404:                             ;   in Loop: Header=BB2_1334 Depth=2
	s_and_not1_saveexec_b32 s13, s13
	s_cbranch_execz .LBB2_1406
; %bb.1405:                             ;   in Loop: Header=BB2_1334 Depth=2
	;;#ASMSTART
	s_waitcnt lgkmcnt(0) vmcnt(0)
	;;#ASMEND
	s_waitcnt lgkmcnt(0)
	s_waitcnt_vscnt null, 0x0
	s_barrier
.LBB2_1406:                             ;   in Loop: Header=BB2_1334 Depth=2
	s_or_b32 exec_lo, exec_lo, s13
.LBB2_1407:                             ;   in Loop: Header=BB2_1334 Depth=2
	s_delay_alu instid0(SALU_CYCLE_1) | instskip(SKIP_2) | instid1(VALU_DEP_1)
	s_or_b32 exec_lo, exec_lo, s5
	v_and_b32_e32 v2, 32, v30
	s_mov_b32 s5, exec_lo
	v_cmpx_ne_u32_e32 0, v2
	s_cbranch_execz .LBB2_1409
; %bb.1408:                             ;   in Loop: Header=BB2_1334 Depth=2
	v_add_co_u32 v22, vcc_lo, v22, 2
	v_add_co_ci_u32_e32 v23, vcc_lo, 0, v23, vcc_lo
	s_waitcnt lgkmcnt(0)
	s_waitcnt_vscnt null, 0x0
	flat_store_b64 v[20:21], v[22:23]
.LBB2_1409:                             ;   in Loop: Header=BB2_1334 Depth=2
	s_or_b32 exec_lo, exec_lo, s5
	v_add_nc_u32_e32 v8, v53, v8
	s_mov_b32 s5, 0
	s_and_not1_b32 exec_lo, exec_lo, s12
	s_cbranch_execnz .LBB2_1334
; %bb.1410:                             ;   in Loop: Header=BB2_51 Depth=1
	s_or_b32 exec_lo, exec_lo, s12
.LBB2_1411:                             ;   in Loop: Header=BB2_51 Depth=1
	s_delay_alu instid0(SALU_CYCLE_1)
	s_or_b32 exec_lo, exec_lo, s10
	v_add_co_u32 v36, vcc_lo, v36, v32
	v_add_co_ci_u32_e32 v37, vcc_lo, v37, v33, vcc_lo
	v_readlane_b32 s12, v42, 1
	v_readlane_b32 s35, v42, 8
	;; [unrolled: 1-line block ×3, first 2 shown]
	s_delay_alu instid0(VALU_DEP_4)
	v_cmp_ge_i64_e32 vcc_lo, v[36:37], v[4:5]
	v_readlane_b32 s13, v42, 10
	s_mov_b32 s14, s17
	s_mov_b32 s34, s16
	;; [unrolled: 1-line block ×3, first 2 shown]
	v_readlane_b32 s30, v42, 2
	s_or_b32 s12, vcc_lo, s12
	v_readlane_b32 s5, v42, 3
	v_readlane_b32 s10, v42, 4
	v_writelane_b32 v42, s12, 1
	s_and_not1_b32 exec_lo, exec_lo, s12
	s_cbranch_execnz .LBB2_51
; %bb.1412:
	s_delay_alu instid0(VALU_DEP_1) | instskip(NEXT) | instid1(VALU_DEP_1)
	v_readlane_b32 s0, v42, 1
	s_or_b32 exec_lo, exec_lo, s0
	v_readlane_b32 s2, v42, 0
.LBB2_1413:
	s_delay_alu instid0(VALU_DEP_1)
	s_or_b32 exec_lo, exec_lo, s2
; %bb.1414:
	v_and_b32_e32 v0, 0x800, v30
	s_mov_b32 s0, exec_lo
	s_delay_alu instid0(VALU_DEP_1)
	v_cmpx_eq_u32_e32 0, v0
	s_cbranch_execz .LBB2_1671
; %bb.1415:
	v_and_b32_e32 v0, 48, v30
	s_mov_b32 s1, exec_lo
	s_delay_alu instid0(VALU_DEP_1)
	v_cmpx_ne_u32_e32 0, v0
	s_cbranch_execz .LBB2_1417
; %bb.1416:
	flat_store_b64 v[18:19], v[22:23] offset:104
.LBB2_1417:
	s_or_b32 exec_lo, exec_lo, s1
	v_and_b32_e32 v0, 0x88, v30
	s_mov_b32 s1, exec_lo
	s_delay_alu instid0(VALU_DEP_1)
	v_cmpx_eq_u32_e32 0x88, v0
	s_cbranch_execz .LBB2_1467
; %bb.1418:
	v_add_nc_u32_e32 v0, 6, v22
	s_mov_b32 s2, 0
                                        ; implicit-def: $sgpr3
	s_delay_alu instid0(VALU_DEP_1) | instskip(NEXT) | instid1(VALU_DEP_1)
	v_and_b32_e32 v0, 7, v0
	v_mad_u64_u32 v[2:3], null, v0, 24, v[6:7]
	v_mov_b32_e32 v0, 0
	s_delay_alu instid0(VALU_DEP_2) | instskip(NEXT) | instid1(VALU_DEP_3)
	v_add_co_u32 v2, vcc_lo, v2, 8
	v_add_co_ci_u32_e32 v3, vcc_lo, 0, v3, vcc_lo
	s_branch .LBB2_1453
.LBB2_1419:
	s_trap 2
	s_sendmsg_rtn_b32 s0, sendmsg(MSG_RTN_GET_DOORBELL)
	s_mov_b32 ttmp2, m0
	s_waitcnt lgkmcnt(0)
	s_and_b32 s0, s0, 0x3ff
	s_delay_alu instid0(SALU_CYCLE_1) | instskip(NEXT) | instid1(SALU_CYCLE_1)
	s_bitset1_b32 s0, 10
	s_mov_b32 m0, s0
	s_sendmsg sendmsg(MSG_INTERRUPT)
	s_mov_b32 m0, ttmp2
.LBB2_1420:                             ; =>This Inner Loop Header: Depth=1
	s_sethalt 5
	s_branch .LBB2_1420
.LBB2_1421:
	v_bfe_u32 v9, v7, 8, 8
	v_not_b32_e32 v8, v8
	s_mov_b32 s1, exec_lo
                                        ; implicit-def: $vgpr32_vgpr33
                                        ; implicit-def: $vgpr14_vgpr15
                                        ; implicit-def: $vgpr4_vgpr5
	s_delay_alu instid0(VALU_DEP_2)
	v_cmpx_ne_u32_e64 v9, v6
	s_xor_b32 s1, exec_lo, s1
	s_cbranch_execz .LBB2_1423
; %bb.1422:
	s_clause 0x1
	flat_load_b128 v[9:12], v[2:3] offset:72
	flat_load_b64 v[4:5], v[2:3] offset:96
	v_add_nc_u32_e32 v6, v6, v8
                                        ; implicit-def: $vgpr8
	s_waitcnt vmcnt(0) lgkmcnt(0)
	v_lshrrev_b64 v[32:33], 15, v[4:5]
	v_dual_mov_b32 v4, v11 :: v_dual_mov_b32 v5, v12
	s_delay_alu instid0(VALU_DEP_3) | instskip(SKIP_2) | instid1(VALU_DEP_3)
	v_ashrrev_i32_e32 v7, 31, v6
	v_mad_u64_u32 v[14:15], null, v11, v6, v[9:10]
	v_mul_lo_u32 v6, v12, v6
                                        ; implicit-def: $vgpr9
	v_mul_lo_u32 v7, v11, v7
	s_delay_alu instid0(VALU_DEP_1)
	v_add3_u32 v15, v6, v15, v7
.LBB2_1423:
	s_and_not1_saveexec_b32 s1, s1
	s_cbranch_execz .LBB2_1425
; %bb.1424:
	s_clause 0x1
	flat_load_b128 v[10:13], v[2:3] offset:72
	flat_load_b128 v[4:7], v[2:3] offset:88
	s_waitcnt vmcnt(0) lgkmcnt(0)
	v_add_nc_u32_e32 v6, v9, v8
	s_delay_alu instid0(VALU_DEP_1) | instskip(NEXT) | instid1(VALU_DEP_1)
	v_ashrrev_i32_e32 v8, 31, v6
	v_mul_lo_u32 v8, v12, v8
	v_mad_u64_u32 v[14:15], null, v12, v6, v[10:11]
	v_mul_lo_u32 v6, v13, v6
	v_lshrrev_b32_e32 v32, 4, v7
	s_delay_alu instid0(VALU_DEP_2)
	v_add3_u32 v15, v6, v15, v8
.LBB2_1425:
	s_or_b32 exec_lo, exec_lo, s1
	s_and_not1_saveexec_b32 s0, s0
	s_cbranch_execz .LBB2_3
.LBB2_1426:
	s_clause 0x1
	flat_load_b64 v[6:7], v[2:3] offset:96
	flat_load_b64 v[4:5], v[2:3] offset:72
	v_mov_b32_e32 v14, 0
	v_mov_b32_e32 v15, 0
	s_waitcnt vmcnt(1) lgkmcnt(1)
	v_lshlrev_b64 v[32:33], 6, v[6:7]
	s_or_b32 exec_lo, exec_lo, s0
	s_cbranch_execz .LBB2_4
.LBB2_1427:
	s_trap 2
	s_sendmsg_rtn_b32 s0, sendmsg(MSG_RTN_GET_DOORBELL)
	s_mov_b32 ttmp2, m0
	s_waitcnt lgkmcnt(0)
	s_and_b32 s0, s0, 0x3ff
	s_delay_alu instid0(SALU_CYCLE_1) | instskip(NEXT) | instid1(SALU_CYCLE_1)
	s_bitset1_b32 s0, 10
	s_mov_b32 m0, s0
	s_sendmsg sendmsg(MSG_INTERRUPT)
	s_mov_b32 m0, ttmp2
.LBB2_1428:                             ; =>This Inner Loop Header: Depth=1
	s_sethalt 5
	s_branch .LBB2_1428
.LBB2_1429:
	s_trap 2
	s_sendmsg_rtn_b32 s0, sendmsg(MSG_RTN_GET_DOORBELL)
	s_mov_b32 ttmp2, m0
	s_waitcnt lgkmcnt(0)
	s_and_b32 s0, s0, 0x3ff
	s_delay_alu instid0(SALU_CYCLE_1) | instskip(NEXT) | instid1(SALU_CYCLE_1)
	s_bitset1_b32 s0, 10
	s_mov_b32 m0, s0
	s_sendmsg sendmsg(MSG_INTERRUPT)
	s_mov_b32 m0, ttmp2
.LBB2_1430:                             ; =>This Inner Loop Header: Depth=1
	s_sethalt 5
	s_branch .LBB2_1430
.LBB2_1431:
	s_trap 2
	s_sendmsg_rtn_b32 s0, sendmsg(MSG_RTN_GET_DOORBELL)
	s_mov_b32 ttmp2, m0
	s_waitcnt lgkmcnt(0)
	s_and_b32 s0, s0, 0x3ff
	s_delay_alu instid0(SALU_CYCLE_1) | instskip(NEXT) | instid1(SALU_CYCLE_1)
	s_bitset1_b32 s0, 10
	s_mov_b32 m0, s0
	s_sendmsg sendmsg(MSG_INTERRUPT)
	s_mov_b32 m0, ttmp2
.LBB2_1432:                             ; =>This Inner Loop Header: Depth=1
	s_sethalt 5
	s_branch .LBB2_1432
.LBB2_1433:
	s_trap 2
	s_sendmsg_rtn_b32 s0, sendmsg(MSG_RTN_GET_DOORBELL)
	s_mov_b32 ttmp2, m0
	s_waitcnt lgkmcnt(0)
	s_and_b32 s0, s0, 0x3ff
	s_delay_alu instid0(SALU_CYCLE_1) | instskip(NEXT) | instid1(SALU_CYCLE_1)
	s_bitset1_b32 s0, 10
	s_mov_b32 m0, s0
	s_sendmsg sendmsg(MSG_INTERRUPT)
	s_mov_b32 m0, ttmp2
.LBB2_1434:                             ; =>This Inner Loop Header: Depth=1
	s_sethalt 5
	s_branch .LBB2_1434
.LBB2_1435:
	s_trap 2
	s_sendmsg_rtn_b32 s0, sendmsg(MSG_RTN_GET_DOORBELL)
	s_mov_b32 ttmp2, m0
	s_waitcnt lgkmcnt(0)
	s_and_b32 s0, s0, 0x3ff
	s_delay_alu instid0(SALU_CYCLE_1) | instskip(NEXT) | instid1(SALU_CYCLE_1)
	s_bitset1_b32 s0, 10
	s_mov_b32 m0, s0
	s_sendmsg sendmsg(MSG_INTERRUPT)
	s_mov_b32 m0, ttmp2
.LBB2_1436:                             ; =>This Inner Loop Header: Depth=1
	s_sethalt 5
	s_branch .LBB2_1436
.LBB2_1437:
	s_trap 2
	s_sendmsg_rtn_b32 s0, sendmsg(MSG_RTN_GET_DOORBELL)
	s_mov_b32 ttmp2, m0
	s_waitcnt lgkmcnt(0)
	s_and_b32 s0, s0, 0x3ff
	s_delay_alu instid0(SALU_CYCLE_1) | instskip(NEXT) | instid1(SALU_CYCLE_1)
	s_bitset1_b32 s0, 10
	s_mov_b32 m0, s0
	s_sendmsg sendmsg(MSG_INTERRUPT)
	s_mov_b32 m0, ttmp2
.LBB2_1438:                             ; =>This Inner Loop Header: Depth=1
	s_sethalt 5
	s_branch .LBB2_1438
.LBB2_1439:
	s_trap 2
	s_sendmsg_rtn_b32 s0, sendmsg(MSG_RTN_GET_DOORBELL)
	s_mov_b32 ttmp2, m0
	s_waitcnt lgkmcnt(0)
	s_and_b32 s0, s0, 0x3ff
	s_delay_alu instid0(SALU_CYCLE_1) | instskip(NEXT) | instid1(SALU_CYCLE_1)
	s_bitset1_b32 s0, 10
	s_mov_b32 m0, s0
	s_sendmsg sendmsg(MSG_INTERRUPT)
	s_mov_b32 m0, ttmp2
.LBB2_1440:                             ; =>This Inner Loop Header: Depth=1
	s_sethalt 5
	s_branch .LBB2_1440
.LBB2_1441:
	s_trap 2
	s_sendmsg_rtn_b32 s0, sendmsg(MSG_RTN_GET_DOORBELL)
	s_mov_b32 ttmp2, m0
	s_waitcnt lgkmcnt(0)
	s_and_b32 s0, s0, 0x3ff
	s_delay_alu instid0(SALU_CYCLE_1) | instskip(NEXT) | instid1(SALU_CYCLE_1)
	s_bitset1_b32 s0, 10
	s_mov_b32 m0, s0
	s_sendmsg sendmsg(MSG_INTERRUPT)
	s_mov_b32 m0, ttmp2
.LBB2_1442:                             ; =>This Inner Loop Header: Depth=1
	s_sethalt 5
	s_branch .LBB2_1442
.LBB2_1443:
	s_trap 2
	s_sendmsg_rtn_b32 s0, sendmsg(MSG_RTN_GET_DOORBELL)
	s_mov_b32 ttmp2, m0
	s_waitcnt lgkmcnt(0)
	s_and_b32 s0, s0, 0x3ff
	s_delay_alu instid0(SALU_CYCLE_1) | instskip(NEXT) | instid1(SALU_CYCLE_1)
	s_bitset1_b32 s0, 10
	s_mov_b32 m0, s0
	s_sendmsg sendmsg(MSG_INTERRUPT)
	s_mov_b32 m0, ttmp2
.LBB2_1444:                             ; =>This Inner Loop Header: Depth=1
	s_sethalt 5
	s_branch .LBB2_1444
.LBB2_1445:
	s_trap 2
	s_sendmsg_rtn_b32 s0, sendmsg(MSG_RTN_GET_DOORBELL)
	s_mov_b32 ttmp2, m0
	s_waitcnt lgkmcnt(0)
	s_and_b32 s0, s0, 0x3ff
	s_delay_alu instid0(SALU_CYCLE_1) | instskip(NEXT) | instid1(SALU_CYCLE_1)
	s_bitset1_b32 s0, 10
	s_mov_b32 m0, s0
	s_sendmsg sendmsg(MSG_INTERRUPT)
	s_mov_b32 m0, ttmp2
.LBB2_1446:                             ; =>This Inner Loop Header: Depth=1
	s_sethalt 5
	s_branch .LBB2_1446
.LBB2_1447:
	s_trap 2
	s_sendmsg_rtn_b32 s0, sendmsg(MSG_RTN_GET_DOORBELL)
	s_mov_b32 ttmp2, m0
	s_waitcnt lgkmcnt(0)
	s_and_b32 s0, s0, 0x3ff
	s_delay_alu instid0(SALU_CYCLE_1) | instskip(NEXT) | instid1(SALU_CYCLE_1)
	s_bitset1_b32 s0, 10
	s_mov_b32 m0, s0
	s_sendmsg sendmsg(MSG_INTERRUPT)
	s_mov_b32 m0, ttmp2
.LBB2_1448:                             ; =>This Inner Loop Header: Depth=1
	s_sethalt 5
	s_branch .LBB2_1448
.LBB2_1449:                             ;   in Loop: Header=BB2_1453 Depth=1
	s_or_b32 exec_lo, exec_lo, s10
	v_mov_b32_e32 v4, 0
	s_or_not1_b32 s7, s7, exec_lo
.LBB2_1450:                             ;   in Loop: Header=BB2_1453 Depth=1
	s_or_b32 exec_lo, exec_lo, s6
	s_delay_alu instid0(VALU_DEP_1)
	v_mov_b32_e32 v0, v4
	s_and_b32 s6, s7, exec_lo
.LBB2_1451:                             ;   in Loop: Header=BB2_1453 Depth=1
	s_or_b32 exec_lo, exec_lo, s5
	s_xor_b32 s5, s6, -1
	s_and_not1_b32 s3, s3, exec_lo
	s_and_b32 s5, s5, exec_lo
	s_delay_alu instid0(SALU_CYCLE_1)
	s_or_b32 s3, s3, s5
.LBB2_1452:                             ;   in Loop: Header=BB2_1453 Depth=1
	s_or_b32 exec_lo, exec_lo, s4
	s_delay_alu instid0(SALU_CYCLE_1) | instskip(NEXT) | instid1(SALU_CYCLE_1)
	s_and_b32 s4, exec_lo, s3
	s_or_b32 s2, s4, s2
	s_delay_alu instid0(SALU_CYCLE_1)
	s_and_not1_b32 exec_lo, exec_lo, s2
	s_cbranch_execz .LBB2_1466
.LBB2_1453:                             ; =>This Inner Loop Header: Depth=1
	flat_load_b64 v[4:5], v[2:3] glc dlc
	s_waitcnt vmcnt(0)
	s_or_b32 s3, s3, exec_lo
	s_mov_b32 s4, exec_lo
	s_waitcnt lgkmcnt(0)
	v_cmpx_ne_u64_e32 -1, v[4:5]
	s_cbranch_execz .LBB2_1452
; %bb.1454:                             ;   in Loop: Header=BB2_1453 Depth=1
	v_and_b32_e32 v4, 64, v30
	s_mov_b32 s6, 0
	s_mov_b32 s5, exec_lo
	s_delay_alu instid0(VALU_DEP_1)
	v_cmpx_eq_u32_e32 0, v4
	s_cbranch_execz .LBB2_1451
; %bb.1455:                             ;   in Loop: Header=BB2_1453 Depth=1
	v_add_nc_u32_e32 v4, 1, v0
	s_mov_b32 s7, -1
	s_mov_b32 s6, exec_lo
	v_cmpx_lt_i32_e32 0x270e, v0
	s_cbranch_execz .LBB2_1450
; %bb.1456:                             ;   in Loop: Header=BB2_1453 Depth=1
	s_cbranch_execnz .LBB2_1460
; %bb.1457:                             ;   in Loop: Header=BB2_1453 Depth=1
	ds_load_b64 v[4:5], v0
	s_mov_b32 s10, exec_lo
	s_waitcnt lgkmcnt(0)
	s_waitcnt_vscnt null, 0x0
	flat_load_b32 v0, v[4:5] glc
	s_waitcnt vmcnt(0) lgkmcnt(0)
	buffer_gl1_inv
	buffer_gl0_inv
	v_cmpx_ne_u32_e32 0, v0
	s_cbranch_execz .LBB2_1449
; %bb.1458:                             ;   in Loop: Header=BB2_1453 Depth=1
	ds_store_b32 v0, v0
	s_cbranch_execnz .LBB2_1484
; %bb.1459:                             ;   in Loop: Header=BB2_1453 Depth=1
	v_or_b32_e32 v30, 64, v30
	s_xor_b32 s7, exec_lo, -1
	s_branch .LBB2_1449
.LBB2_1460:
	s_trap 2
	s_sendmsg_rtn_b32 s0, sendmsg(MSG_RTN_GET_DOORBELL)
	s_mov_b32 ttmp2, m0
	s_waitcnt lgkmcnt(0)
	s_and_b32 s0, s0, 0x3ff
	s_delay_alu instid0(SALU_CYCLE_1) | instskip(NEXT) | instid1(SALU_CYCLE_1)
	s_bitset1_b32 s0, 10
	s_mov_b32 m0, s0
	s_sendmsg sendmsg(MSG_INTERRUPT)
	s_mov_b32 m0, ttmp2
.LBB2_1461:                             ; =>This Inner Loop Header: Depth=1
	s_sethalt 5
	s_branch .LBB2_1461
.LBB2_1462:
	s_trap 2
	s_sendmsg_rtn_b32 s0, sendmsg(MSG_RTN_GET_DOORBELL)
	s_mov_b32 ttmp2, m0
	s_waitcnt lgkmcnt(0)
	s_and_b32 s0, s0, 0x3ff
	s_delay_alu instid0(SALU_CYCLE_1) | instskip(NEXT) | instid1(SALU_CYCLE_1)
	s_bitset1_b32 s0, 10
	s_mov_b32 m0, s0
	s_sendmsg sendmsg(MSG_INTERRUPT)
	s_mov_b32 m0, ttmp2
.LBB2_1463:                             ; =>This Inner Loop Header: Depth=1
	s_sethalt 5
	s_branch .LBB2_1463
.LBB2_1464:
	s_trap 2
	s_sendmsg_rtn_b32 s0, sendmsg(MSG_RTN_GET_DOORBELL)
	s_mov_b32 ttmp2, m0
	s_waitcnt lgkmcnt(0)
	s_and_b32 s0, s0, 0x3ff
	s_delay_alu instid0(SALU_CYCLE_1) | instskip(NEXT) | instid1(SALU_CYCLE_1)
	s_bitset1_b32 s0, 10
	s_mov_b32 m0, s0
	s_sendmsg sendmsg(MSG_INTERRUPT)
	s_mov_b32 m0, ttmp2
.LBB2_1465:                             ; =>This Inner Loop Header: Depth=1
	s_sethalt 5
	s_branch .LBB2_1465
.LBB2_1466:
	s_or_b32 exec_lo, exec_lo, s2
.LBB2_1467:
	s_delay_alu instid0(SALU_CYCLE_1) | instskip(SKIP_2) | instid1(VALU_DEP_1)
	s_or_b32 exec_lo, exec_lo, s1
	v_and_b32_e32 v0, 0x2000, v30
	s_mov_b32 s1, exec_lo
	v_cmpx_ne_u32_e32 0, v0
	s_cbranch_execz .LBB2_1470
; %bb.1468:
	s_cbranch_execnz .LBB2_1478
; %bb.1469:
	ds_load_b64 v[2:3], v0
	s_waitcnt lgkmcnt(0)
	flat_store_b64 v[16:17], v[2:3] offset:16
.LBB2_1470:
	s_or_b32 exec_lo, exec_lo, s1
	v_cmp_ne_u32_e32 vcc_lo, 32, v1
	s_and_b32 exec_lo, exec_lo, vcc_lo
	s_cbranch_execz .LBB2_1671
; %bb.1471:
	s_mov_b32 s1, exec_lo
	v_cmpx_ne_u32_e64 v82, v1
	s_xor_b32 s1, exec_lo, s1
	s_cbranch_execz .LBB2_1669
; %bb.1472:
	v_and_b32_e32 v0, 31, v31
	s_mov_b32 s2, exec_lo
	s_delay_alu instid0(VALU_DEP_1)
	v_cmpx_eq_u32_e32 0, v0
	s_cbranch_execz .LBB2_1668
; %bb.1473:
	s_mov_b32 s4, exec_lo
	s_mov_b32 s3, exec_lo
	v_mbcnt_lo_u32_b32 v0, s4, 0
	s_waitcnt lgkmcnt(0)
	s_waitcnt_vscnt null, 0x0
	buffer_gl1_inv
	buffer_gl0_inv
	v_cmpx_eq_u32_e32 0, v0
	s_cbranch_execz .LBB2_1475
; %bb.1474:
	s_bcnt1_i32_b32 s4, s4
	s_delay_alu instid0(SALU_CYCLE_1)
	v_dual_mov_b32 v3, 0 :: v_dual_mov_b32 v2, s4
	ds_add_u64 v0, v[2:3]
	s_cbranch_execnz .LBB2_1513
.LBB2_1475:
	s_or_b32 exec_lo, exec_lo, s3
	s_cbranch_execnz .LBB2_1492
; %bb.1476:
	v_ashrrev_i32_e32 v0, 31, v1
	s_mov_b32 s3, exec_lo
	s_delay_alu instid0(VALU_DEP_1) | instskip(NEXT) | instid1(VALU_DEP_1)
	v_lshrrev_b32_e32 v0, 27, v0
	v_add_nc_u32_e32 v0, v1, v0
	ds_load_b64 v[2:3], v0
	v_ashrrev_i32_e32 v0, 5, v0
	s_delay_alu instid0(VALU_DEP_1) | instskip(SKIP_1) | instid1(VALU_DEP_2)
	v_ashrrev_i32_e32 v1, 31, v0
	v_add_co_u32 v0, vcc_lo, v12, v0
	v_add_co_ci_u32_e32 v1, vcc_lo, v13, v1, vcc_lo
	s_waitcnt lgkmcnt(0)
	s_delay_alu instid0(VALU_DEP_1)
	v_cmpx_lt_u64_e64 v[2:3], v[0:1]
	s_cbranch_execz .LBB2_1667
; %bb.1477:
	s_mov_b32 s4, 0
	s_mov_b32 s7, 0
                                        ; implicit-def: $sgpr5
                                        ; implicit-def: $sgpr6
	s_branch .LBB2_1499
.LBB2_1478:
	s_trap 2
	s_sendmsg_rtn_b32 s0, sendmsg(MSG_RTN_GET_DOORBELL)
	s_mov_b32 ttmp2, m0
	s_waitcnt lgkmcnt(0)
	s_and_b32 s0, s0, 0x3ff
	s_delay_alu instid0(SALU_CYCLE_1) | instskip(NEXT) | instid1(SALU_CYCLE_1)
	s_bitset1_b32 s0, 10
	s_mov_b32 m0, s0
	s_sendmsg sendmsg(MSG_INTERRUPT)
	s_mov_b32 m0, ttmp2
.LBB2_1479:                             ; =>This Inner Loop Header: Depth=1
	s_sethalt 5
	s_branch .LBB2_1479
.LBB2_1480:
	s_trap 2
	s_sendmsg_rtn_b32 s0, sendmsg(MSG_RTN_GET_DOORBELL)
	s_mov_b32 ttmp2, m0
	s_waitcnt lgkmcnt(0)
	s_and_b32 s0, s0, 0x3ff
	s_delay_alu instid0(SALU_CYCLE_1) | instskip(NEXT) | instid1(SALU_CYCLE_1)
	s_bitset1_b32 s0, 10
	s_mov_b32 m0, s0
	s_sendmsg sendmsg(MSG_INTERRUPT)
	s_mov_b32 m0, ttmp2
.LBB2_1481:                             ; =>This Inner Loop Header: Depth=1
	s_sethalt 5
	s_branch .LBB2_1481
.LBB2_1482:
	s_trap 2
	s_sendmsg_rtn_b32 s0, sendmsg(MSG_RTN_GET_DOORBELL)
	s_mov_b32 ttmp2, m0
	s_waitcnt lgkmcnt(0)
	s_and_b32 s0, s0, 0x3ff
	s_delay_alu instid0(SALU_CYCLE_1) | instskip(NEXT) | instid1(SALU_CYCLE_1)
	s_bitset1_b32 s0, 10
	s_mov_b32 m0, s0
	s_sendmsg sendmsg(MSG_INTERRUPT)
	s_mov_b32 m0, ttmp2
.LBB2_1483:                             ; =>This Inner Loop Header: Depth=1
	s_sethalt 5
	s_branch .LBB2_1483
.LBB2_1484:
	s_trap 2
	s_sendmsg_rtn_b32 s0, sendmsg(MSG_RTN_GET_DOORBELL)
	s_mov_b32 ttmp2, m0
	s_waitcnt lgkmcnt(0)
	s_and_b32 s0, s0, 0x3ff
	s_delay_alu instid0(SALU_CYCLE_1) | instskip(NEXT) | instid1(SALU_CYCLE_1)
	s_bitset1_b32 s0, 10
	s_mov_b32 m0, s0
	s_sendmsg sendmsg(MSG_INTERRUPT)
	s_mov_b32 m0, ttmp2
.LBB2_1485:                             ; =>This Inner Loop Header: Depth=1
	s_sethalt 5
	s_branch .LBB2_1485
.LBB2_1486:
	s_trap 2
	s_sendmsg_rtn_b32 s0, sendmsg(MSG_RTN_GET_DOORBELL)
	s_mov_b32 ttmp2, m0
	s_waitcnt lgkmcnt(0)
	s_and_b32 s0, s0, 0x3ff
	s_delay_alu instid0(SALU_CYCLE_1) | instskip(NEXT) | instid1(SALU_CYCLE_1)
	s_bitset1_b32 s0, 10
	s_mov_b32 m0, s0
	s_sendmsg sendmsg(MSG_INTERRUPT)
	s_mov_b32 m0, ttmp2
.LBB2_1487:                             ; =>This Inner Loop Header: Depth=1
	s_sethalt 5
	s_branch .LBB2_1487
.LBB2_1488:
	s_trap 2
	s_sendmsg_rtn_b32 s0, sendmsg(MSG_RTN_GET_DOORBELL)
	s_mov_b32 ttmp2, m0
	s_waitcnt lgkmcnt(0)
	s_and_b32 s0, s0, 0x3ff
	s_delay_alu instid0(SALU_CYCLE_1) | instskip(NEXT) | instid1(SALU_CYCLE_1)
	s_bitset1_b32 s0, 10
	s_mov_b32 m0, s0
	s_sendmsg sendmsg(MSG_INTERRUPT)
	s_mov_b32 m0, ttmp2
.LBB2_1489:                             ; =>This Inner Loop Header: Depth=1
	s_sethalt 5
	s_branch .LBB2_1489
.LBB2_1490:
	s_trap 2
	s_sendmsg_rtn_b32 s0, sendmsg(MSG_RTN_GET_DOORBELL)
	s_mov_b32 ttmp2, m0
	s_waitcnt lgkmcnt(0)
	s_and_b32 s0, s0, 0x3ff
	s_delay_alu instid0(SALU_CYCLE_1) | instskip(NEXT) | instid1(SALU_CYCLE_1)
	s_bitset1_b32 s0, 10
	s_mov_b32 m0, s0
	s_sendmsg sendmsg(MSG_INTERRUPT)
	s_mov_b32 m0, ttmp2
.LBB2_1491:                             ; =>This Inner Loop Header: Depth=1
	s_sethalt 5
	s_branch .LBB2_1491
.LBB2_1492:
	s_trap 2
	s_sendmsg_rtn_b32 s0, sendmsg(MSG_RTN_GET_DOORBELL)
	s_mov_b32 ttmp2, m0
	s_waitcnt lgkmcnt(0)
	s_and_b32 s0, s0, 0x3ff
	s_delay_alu instid0(SALU_CYCLE_1) | instskip(NEXT) | instid1(SALU_CYCLE_1)
	s_bitset1_b32 s0, 10
	s_mov_b32 m0, s0
	s_sendmsg sendmsg(MSG_INTERRUPT)
	s_mov_b32 m0, ttmp2
.LBB2_1493:                             ; =>This Inner Loop Header: Depth=1
	s_sethalt 5
	s_branch .LBB2_1493
.LBB2_1494:
	s_trap 2
	s_sendmsg_rtn_b32 s0, sendmsg(MSG_RTN_GET_DOORBELL)
	s_mov_b32 ttmp2, m0
	s_waitcnt lgkmcnt(0)
	s_and_b32 s0, s0, 0x3ff
	s_delay_alu instid0(SALU_CYCLE_1) | instskip(NEXT) | instid1(SALU_CYCLE_1)
	s_bitset1_b32 s0, 10
	s_mov_b32 m0, s0
	s_sendmsg sendmsg(MSG_INTERRUPT)
	s_mov_b32 m0, ttmp2
.LBB2_1495:                             ; =>This Inner Loop Header: Depth=1
	s_sethalt 5
	s_branch .LBB2_1495
.LBB2_1496:
	s_trap 2
	s_sendmsg_rtn_b32 s0, sendmsg(MSG_RTN_GET_DOORBELL)
	s_mov_b32 ttmp2, m0
	s_waitcnt lgkmcnt(0)
	s_and_b32 s0, s0, 0x3ff
	s_delay_alu instid0(SALU_CYCLE_1) | instskip(NEXT) | instid1(SALU_CYCLE_1)
	s_bitset1_b32 s0, 10
	s_mov_b32 m0, s0
	s_sendmsg sendmsg(MSG_INTERRUPT)
	s_mov_b32 m0, ttmp2
.LBB2_1497:                             ; =>This Inner Loop Header: Depth=1
	s_sethalt 5
	s_branch .LBB2_1497
.LBB2_1498:                             ;   in Loop: Header=BB2_1499 Depth=1
	s_or_b32 exec_lo, exec_lo, s12
	s_delay_alu instid0(SALU_CYCLE_1) | instskip(NEXT) | instid1(SALU_CYCLE_1)
	s_and_b32 s10, exec_lo, s11
	s_or_b32 s4, s10, s4
	s_and_not1_b32 s5, s5, exec_lo
	s_and_b32 s10, s6, exec_lo
	s_delay_alu instid0(SALU_CYCLE_1)
	s_or_b32 s5, s5, s10
	s_and_not1_b32 exec_lo, exec_lo, s4
	s_cbranch_execz .LBB2_1665
.LBB2_1499:                             ; =>This Inner Loop Header: Depth=1
	s_add_i32 s7, s7, 1
                                        ; implicit-def: $sgpr11
	s_delay_alu instid0(SALU_CYCLE_1) | instskip(SKIP_1) | instid1(SALU_CYCLE_1)
	s_cmpk_lg_i32 s7, 0x2710
	s_cselect_b32 s10, -1, 0
	s_and_b32 vcc_lo, exec_lo, s10
	s_cbranch_vccz .LBB2_1503
.LBB2_1500:                             ;   in Loop: Header=BB2_1499 Depth=1
	s_and_not1_b32 s6, s6, exec_lo
	s_and_b32 s12, s11, exec_lo
	s_mov_b32 s11, -1
	s_or_b32 s6, s6, s12
	s_and_saveexec_b32 s12, s10
	s_cbranch_execz .LBB2_1498
; %bb.1501:                             ;   in Loop: Header=BB2_1499 Depth=1
	s_sleep 1
	s_cbranch_execnz .LBB2_1551
; %bb.1502:                             ;   in Loop: Header=BB2_1499 Depth=1
	ds_load_b64 v[2:3], v0
	s_and_not1_b32 s6, s6, exec_lo
	s_waitcnt lgkmcnt(0)
	v_cmp_ge_u64_e32 vcc_lo, v[2:3], v[0:1]
	s_or_not1_b32 s11, vcc_lo, exec_lo
	s_branch .LBB2_1498
.LBB2_1503:                             ;   in Loop: Header=BB2_1499 Depth=1
	s_cbranch_execnz .LBB2_1553
; %bb.1504:                             ;   in Loop: Header=BB2_1499 Depth=1
	ds_load_b64 v[2:3], v0
	s_and_not1_b32 s10, s10, exec_lo
	s_mov_b32 s7, 0
	s_mov_b32 s11, -1
	s_waitcnt lgkmcnt(0)
	flat_load_b32 v2, v[2:3] glc
	s_waitcnt vmcnt(0) lgkmcnt(0)
	buffer_gl1_inv
	buffer_gl0_inv
	v_cmp_eq_u32_e32 vcc_lo, 0, v2
	s_and_b32 s12, vcc_lo, exec_lo
	s_delay_alu instid0(SALU_CYCLE_1)
	s_or_b32 s10, s10, s12
	s_branch .LBB2_1500
.LBB2_1505:
	s_trap 2
	s_sendmsg_rtn_b32 s0, sendmsg(MSG_RTN_GET_DOORBELL)
	s_mov_b32 ttmp2, m0
	s_waitcnt lgkmcnt(0)
	s_and_b32 s0, s0, 0x3ff
	s_delay_alu instid0(SALU_CYCLE_1) | instskip(NEXT) | instid1(SALU_CYCLE_1)
	s_bitset1_b32 s0, 10
	s_mov_b32 m0, s0
	s_sendmsg sendmsg(MSG_INTERRUPT)
	s_mov_b32 m0, ttmp2
.LBB2_1506:                             ; =>This Inner Loop Header: Depth=1
	s_sethalt 5
	s_branch .LBB2_1506
.LBB2_1507:
	s_trap 2
	s_sendmsg_rtn_b32 s0, sendmsg(MSG_RTN_GET_DOORBELL)
	s_mov_b32 ttmp2, m0
	s_waitcnt lgkmcnt(0)
	s_and_b32 s0, s0, 0x3ff
	s_delay_alu instid0(SALU_CYCLE_1) | instskip(NEXT) | instid1(SALU_CYCLE_1)
	s_bitset1_b32 s0, 10
	s_mov_b32 m0, s0
	s_sendmsg sendmsg(MSG_INTERRUPT)
	s_mov_b32 m0, ttmp2
.LBB2_1508:                             ; =>This Inner Loop Header: Depth=1
	s_sethalt 5
	s_branch .LBB2_1508
.LBB2_1509:
	s_trap 2
	s_sendmsg_rtn_b32 s0, sendmsg(MSG_RTN_GET_DOORBELL)
	s_mov_b32 ttmp2, m0
	s_waitcnt lgkmcnt(0)
	s_and_b32 s0, s0, 0x3ff
	s_delay_alu instid0(SALU_CYCLE_1) | instskip(NEXT) | instid1(SALU_CYCLE_1)
	s_bitset1_b32 s0, 10
	s_mov_b32 m0, s0
	s_sendmsg sendmsg(MSG_INTERRUPT)
	s_mov_b32 m0, ttmp2
.LBB2_1510:                             ; =>This Inner Loop Header: Depth=1
	s_sethalt 5
	s_branch .LBB2_1510
.LBB2_1511:
	s_trap 2
	s_sendmsg_rtn_b32 s0, sendmsg(MSG_RTN_GET_DOORBELL)
	s_mov_b32 ttmp2, m0
	s_waitcnt lgkmcnt(0)
	s_and_b32 s0, s0, 0x3ff
	s_delay_alu instid0(SALU_CYCLE_1) | instskip(NEXT) | instid1(SALU_CYCLE_1)
	s_bitset1_b32 s0, 10
	s_mov_b32 m0, s0
	s_sendmsg sendmsg(MSG_INTERRUPT)
	s_mov_b32 m0, ttmp2
.LBB2_1512:                             ; =>This Inner Loop Header: Depth=1
	s_sethalt 5
	s_branch .LBB2_1512
.LBB2_1513:
	s_trap 2
	s_sendmsg_rtn_b32 s0, sendmsg(MSG_RTN_GET_DOORBELL)
	s_mov_b32 ttmp2, m0
	s_waitcnt lgkmcnt(0)
	s_and_b32 s0, s0, 0x3ff
	s_delay_alu instid0(SALU_CYCLE_1) | instskip(NEXT) | instid1(SALU_CYCLE_1)
	s_bitset1_b32 s0, 10
	s_mov_b32 m0, s0
	s_sendmsg sendmsg(MSG_INTERRUPT)
	s_mov_b32 m0, ttmp2
.LBB2_1514:                             ; =>This Inner Loop Header: Depth=1
	s_sethalt 5
	s_branch .LBB2_1514
.LBB2_1515:
	s_trap 2
	s_sendmsg_rtn_b32 s0, sendmsg(MSG_RTN_GET_DOORBELL)
	s_mov_b32 ttmp2, m0
	s_waitcnt lgkmcnt(0)
	s_and_b32 s0, s0, 0x3ff
	s_delay_alu instid0(SALU_CYCLE_1) | instskip(NEXT) | instid1(SALU_CYCLE_1)
	s_bitset1_b32 s0, 10
	s_mov_b32 m0, s0
	s_sendmsg sendmsg(MSG_INTERRUPT)
	s_mov_b32 m0, ttmp2
.LBB2_1516:                             ; =>This Inner Loop Header: Depth=1
	s_sethalt 5
	s_branch .LBB2_1516
.LBB2_1517:
	s_trap 2
	s_sendmsg_rtn_b32 s0, sendmsg(MSG_RTN_GET_DOORBELL)
	s_mov_b32 ttmp2, m0
	s_waitcnt lgkmcnt(0)
	s_and_b32 s0, s0, 0x3ff
	s_delay_alu instid0(SALU_CYCLE_1) | instskip(NEXT) | instid1(SALU_CYCLE_1)
	s_bitset1_b32 s0, 10
	s_mov_b32 m0, s0
	s_sendmsg sendmsg(MSG_INTERRUPT)
	s_mov_b32 m0, ttmp2
.LBB2_1518:                             ; =>This Inner Loop Header: Depth=1
	s_sethalt 5
	s_branch .LBB2_1518
.LBB2_1519:
	s_trap 2
	s_sendmsg_rtn_b32 s0, sendmsg(MSG_RTN_GET_DOORBELL)
	s_mov_b32 ttmp2, m0
	s_waitcnt lgkmcnt(0)
	s_and_b32 s0, s0, 0x3ff
	s_delay_alu instid0(SALU_CYCLE_1) | instskip(NEXT) | instid1(SALU_CYCLE_1)
	s_bitset1_b32 s0, 10
	s_mov_b32 m0, s0
	s_sendmsg sendmsg(MSG_INTERRUPT)
	s_mov_b32 m0, ttmp2
.LBB2_1520:                             ; =>This Inner Loop Header: Depth=1
	s_sethalt 5
	s_branch .LBB2_1520
.LBB2_1521:
	s_trap 2
	s_sendmsg_rtn_b32 s0, sendmsg(MSG_RTN_GET_DOORBELL)
	s_mov_b32 ttmp2, m0
	s_waitcnt lgkmcnt(0)
	s_and_b32 s0, s0, 0x3ff
	s_delay_alu instid0(SALU_CYCLE_1) | instskip(NEXT) | instid1(SALU_CYCLE_1)
	s_bitset1_b32 s0, 10
	s_mov_b32 m0, s0
	s_sendmsg sendmsg(MSG_INTERRUPT)
	s_mov_b32 m0, ttmp2
.LBB2_1522:                             ; =>This Inner Loop Header: Depth=1
	s_sethalt 5
	s_branch .LBB2_1522
.LBB2_1523:
	s_trap 2
	s_sendmsg_rtn_b32 s0, sendmsg(MSG_RTN_GET_DOORBELL)
	s_mov_b32 ttmp2, m0
	s_waitcnt lgkmcnt(0)
	s_and_b32 s0, s0, 0x3ff
	s_delay_alu instid0(SALU_CYCLE_1) | instskip(NEXT) | instid1(SALU_CYCLE_1)
	s_bitset1_b32 s0, 10
	s_mov_b32 m0, s0
	s_sendmsg sendmsg(MSG_INTERRUPT)
	s_mov_b32 m0, ttmp2
.LBB2_1524:                             ; =>This Inner Loop Header: Depth=1
	s_sethalt 5
	s_branch .LBB2_1524
.LBB2_1525:
	s_trap 2
	s_sendmsg_rtn_b32 s0, sendmsg(MSG_RTN_GET_DOORBELL)
	s_mov_b32 ttmp2, m0
	s_waitcnt lgkmcnt(0)
	s_and_b32 s0, s0, 0x3ff
	s_delay_alu instid0(SALU_CYCLE_1) | instskip(NEXT) | instid1(SALU_CYCLE_1)
	s_bitset1_b32 s0, 10
	s_mov_b32 m0, s0
	s_sendmsg sendmsg(MSG_INTERRUPT)
	s_mov_b32 m0, ttmp2
.LBB2_1526:                             ; =>This Inner Loop Header: Depth=1
	s_sethalt 5
	s_branch .LBB2_1526
.LBB2_1527:
	s_trap 2
	s_sendmsg_rtn_b32 s0, sendmsg(MSG_RTN_GET_DOORBELL)
	s_mov_b32 ttmp2, m0
	s_waitcnt lgkmcnt(0)
	s_and_b32 s0, s0, 0x3ff
	s_delay_alu instid0(SALU_CYCLE_1) | instskip(NEXT) | instid1(SALU_CYCLE_1)
	s_bitset1_b32 s0, 10
	s_mov_b32 m0, s0
	s_sendmsg sendmsg(MSG_INTERRUPT)
	s_mov_b32 m0, ttmp2
.LBB2_1528:                             ; =>This Inner Loop Header: Depth=1
	s_sethalt 5
	s_branch .LBB2_1528
.LBB2_1529:
	s_trap 2
	s_sendmsg_rtn_b32 s0, sendmsg(MSG_RTN_GET_DOORBELL)
	s_mov_b32 ttmp2, m0
	s_waitcnt lgkmcnt(0)
	s_and_b32 s0, s0, 0x3ff
	s_delay_alu instid0(SALU_CYCLE_1) | instskip(NEXT) | instid1(SALU_CYCLE_1)
	s_bitset1_b32 s0, 10
	s_mov_b32 m0, s0
	s_sendmsg sendmsg(MSG_INTERRUPT)
	s_mov_b32 m0, ttmp2
.LBB2_1530:                             ; =>This Inner Loop Header: Depth=1
	s_sethalt 5
	s_branch .LBB2_1530
.LBB2_1531:
	s_trap 2
	s_sendmsg_rtn_b32 s0, sendmsg(MSG_RTN_GET_DOORBELL)
	s_mov_b32 ttmp2, m0
	s_waitcnt lgkmcnt(0)
	s_and_b32 s0, s0, 0x3ff
	s_delay_alu instid0(SALU_CYCLE_1) | instskip(NEXT) | instid1(SALU_CYCLE_1)
	s_bitset1_b32 s0, 10
	s_mov_b32 m0, s0
	s_sendmsg sendmsg(MSG_INTERRUPT)
	s_mov_b32 m0, ttmp2
.LBB2_1532:                             ; =>This Inner Loop Header: Depth=1
	s_sethalt 5
	s_branch .LBB2_1532
.LBB2_1533:
	s_trap 2
	s_sendmsg_rtn_b32 s0, sendmsg(MSG_RTN_GET_DOORBELL)
	s_mov_b32 ttmp2, m0
	s_waitcnt lgkmcnt(0)
	s_and_b32 s0, s0, 0x3ff
	s_delay_alu instid0(SALU_CYCLE_1) | instskip(NEXT) | instid1(SALU_CYCLE_1)
	s_bitset1_b32 s0, 10
	s_mov_b32 m0, s0
	s_sendmsg sendmsg(MSG_INTERRUPT)
	s_mov_b32 m0, ttmp2
.LBB2_1534:                             ; =>This Inner Loop Header: Depth=1
	s_sethalt 5
	s_branch .LBB2_1534
.LBB2_1535:
	s_trap 2
	s_sendmsg_rtn_b32 s0, sendmsg(MSG_RTN_GET_DOORBELL)
	s_mov_b32 ttmp2, m0
	s_waitcnt lgkmcnt(0)
	s_and_b32 s0, s0, 0x3ff
	s_delay_alu instid0(SALU_CYCLE_1) | instskip(NEXT) | instid1(SALU_CYCLE_1)
	s_bitset1_b32 s0, 10
	s_mov_b32 m0, s0
	s_sendmsg sendmsg(MSG_INTERRUPT)
	s_mov_b32 m0, ttmp2
.LBB2_1536:                             ; =>This Inner Loop Header: Depth=1
	s_sethalt 5
	s_branch .LBB2_1536
.LBB2_1537:
	s_trap 2
	s_sendmsg_rtn_b32 s0, sendmsg(MSG_RTN_GET_DOORBELL)
	s_mov_b32 ttmp2, m0
	s_waitcnt lgkmcnt(0)
	s_and_b32 s0, s0, 0x3ff
	s_delay_alu instid0(SALU_CYCLE_1) | instskip(NEXT) | instid1(SALU_CYCLE_1)
	s_bitset1_b32 s0, 10
	s_mov_b32 m0, s0
	s_sendmsg sendmsg(MSG_INTERRUPT)
	s_mov_b32 m0, ttmp2
.LBB2_1538:                             ; =>This Inner Loop Header: Depth=1
	s_sethalt 5
	s_branch .LBB2_1538
.LBB2_1539:
	s_trap 2
	s_sendmsg_rtn_b32 s0, sendmsg(MSG_RTN_GET_DOORBELL)
	s_mov_b32 ttmp2, m0
	s_waitcnt lgkmcnt(0)
	s_and_b32 s0, s0, 0x3ff
	s_delay_alu instid0(SALU_CYCLE_1) | instskip(NEXT) | instid1(SALU_CYCLE_1)
	s_bitset1_b32 s0, 10
	s_mov_b32 m0, s0
	s_sendmsg sendmsg(MSG_INTERRUPT)
	s_mov_b32 m0, ttmp2
.LBB2_1540:                             ; =>This Inner Loop Header: Depth=1
	s_sethalt 5
	s_branch .LBB2_1540
.LBB2_1541:
	s_trap 2
	s_sendmsg_rtn_b32 s0, sendmsg(MSG_RTN_GET_DOORBELL)
	s_mov_b32 ttmp2, m0
	s_waitcnt lgkmcnt(0)
	s_and_b32 s0, s0, 0x3ff
	s_delay_alu instid0(SALU_CYCLE_1) | instskip(NEXT) | instid1(SALU_CYCLE_1)
	s_bitset1_b32 s0, 10
	s_mov_b32 m0, s0
	s_sendmsg sendmsg(MSG_INTERRUPT)
	s_mov_b32 m0, ttmp2
.LBB2_1542:                             ; =>This Inner Loop Header: Depth=1
	s_sethalt 5
	s_branch .LBB2_1542
.LBB2_1543:
	s_trap 2
	s_sendmsg_rtn_b32 s0, sendmsg(MSG_RTN_GET_DOORBELL)
	s_mov_b32 ttmp2, m0
	s_waitcnt lgkmcnt(0)
	s_and_b32 s0, s0, 0x3ff
	s_delay_alu instid0(SALU_CYCLE_1) | instskip(NEXT) | instid1(SALU_CYCLE_1)
	s_bitset1_b32 s0, 10
	s_mov_b32 m0, s0
	s_sendmsg sendmsg(MSG_INTERRUPT)
	s_mov_b32 m0, ttmp2
.LBB2_1544:                             ; =>This Inner Loop Header: Depth=1
	s_sethalt 5
	s_branch .LBB2_1544
.LBB2_1545:
	s_trap 2
	s_sendmsg_rtn_b32 s0, sendmsg(MSG_RTN_GET_DOORBELL)
	s_mov_b32 ttmp2, m0
	s_waitcnt lgkmcnt(0)
	s_and_b32 s0, s0, 0x3ff
	s_delay_alu instid0(SALU_CYCLE_1) | instskip(NEXT) | instid1(SALU_CYCLE_1)
	s_bitset1_b32 s0, 10
	s_mov_b32 m0, s0
	s_sendmsg sendmsg(MSG_INTERRUPT)
	s_mov_b32 m0, ttmp2
.LBB2_1546:                             ; =>This Inner Loop Header: Depth=1
	s_sethalt 5
	s_branch .LBB2_1546
.LBB2_1547:
	s_trap 2
	s_sendmsg_rtn_b32 s0, sendmsg(MSG_RTN_GET_DOORBELL)
	s_mov_b32 ttmp2, m0
	s_waitcnt lgkmcnt(0)
	s_and_b32 s0, s0, 0x3ff
	s_delay_alu instid0(SALU_CYCLE_1) | instskip(NEXT) | instid1(SALU_CYCLE_1)
	s_bitset1_b32 s0, 10
	s_mov_b32 m0, s0
	s_sendmsg sendmsg(MSG_INTERRUPT)
	s_mov_b32 m0, ttmp2
.LBB2_1548:                             ; =>This Inner Loop Header: Depth=1
	s_sethalt 5
	s_branch .LBB2_1548
.LBB2_1549:
	s_trap 2
	s_sendmsg_rtn_b32 s0, sendmsg(MSG_RTN_GET_DOORBELL)
	s_mov_b32 ttmp2, m0
	s_waitcnt lgkmcnt(0)
	s_and_b32 s0, s0, 0x3ff
	s_delay_alu instid0(SALU_CYCLE_1) | instskip(NEXT) | instid1(SALU_CYCLE_1)
	s_bitset1_b32 s0, 10
	s_mov_b32 m0, s0
	s_sendmsg sendmsg(MSG_INTERRUPT)
	s_mov_b32 m0, ttmp2
.LBB2_1550:                             ; =>This Inner Loop Header: Depth=1
	s_sethalt 5
	s_branch .LBB2_1550
.LBB2_1551:
	s_trap 2
	s_sendmsg_rtn_b32 s0, sendmsg(MSG_RTN_GET_DOORBELL)
	s_mov_b32 ttmp2, m0
	s_waitcnt lgkmcnt(0)
	s_and_b32 s0, s0, 0x3ff
	s_delay_alu instid0(SALU_CYCLE_1) | instskip(NEXT) | instid1(SALU_CYCLE_1)
	s_bitset1_b32 s0, 10
	s_mov_b32 m0, s0
	s_sendmsg sendmsg(MSG_INTERRUPT)
	s_mov_b32 m0, ttmp2
.LBB2_1552:                             ; =>This Inner Loop Header: Depth=1
	s_sethalt 5
	s_branch .LBB2_1552
.LBB2_1553:
	s_trap 2
	s_sendmsg_rtn_b32 s0, sendmsg(MSG_RTN_GET_DOORBELL)
	s_mov_b32 ttmp2, m0
	s_waitcnt lgkmcnt(0)
	s_and_b32 s0, s0, 0x3ff
	s_delay_alu instid0(SALU_CYCLE_1) | instskip(NEXT) | instid1(SALU_CYCLE_1)
	s_bitset1_b32 s0, 10
	s_mov_b32 m0, s0
	s_sendmsg sendmsg(MSG_INTERRUPT)
	s_mov_b32 m0, ttmp2
.LBB2_1554:                             ; =>This Inner Loop Header: Depth=1
	s_sethalt 5
	s_branch .LBB2_1554
.LBB2_1555:
	s_trap 2
	s_sendmsg_rtn_b32 s0, sendmsg(MSG_RTN_GET_DOORBELL)
	s_mov_b32 ttmp2, m0
	s_waitcnt lgkmcnt(0)
	s_and_b32 s0, s0, 0x3ff
	s_delay_alu instid0(SALU_CYCLE_1) | instskip(NEXT) | instid1(SALU_CYCLE_1)
	s_bitset1_b32 s0, 10
	s_mov_b32 m0, s0
	s_sendmsg sendmsg(MSG_INTERRUPT)
	s_mov_b32 m0, ttmp2
.LBB2_1556:                             ; =>This Inner Loop Header: Depth=1
	s_sethalt 5
	s_branch .LBB2_1556
.LBB2_1557:
	s_trap 2
	s_sendmsg_rtn_b32 s0, sendmsg(MSG_RTN_GET_DOORBELL)
	s_mov_b32 ttmp2, m0
	s_waitcnt lgkmcnt(0)
	s_and_b32 s0, s0, 0x3ff
	s_delay_alu instid0(SALU_CYCLE_1) | instskip(NEXT) | instid1(SALU_CYCLE_1)
	s_bitset1_b32 s0, 10
	s_mov_b32 m0, s0
	s_sendmsg sendmsg(MSG_INTERRUPT)
	s_mov_b32 m0, ttmp2
.LBB2_1558:                             ; =>This Inner Loop Header: Depth=1
	s_sethalt 5
	s_branch .LBB2_1558
.LBB2_1559:
	s_trap 2
	s_sendmsg_rtn_b32 s0, sendmsg(MSG_RTN_GET_DOORBELL)
	s_mov_b32 ttmp2, m0
	s_waitcnt lgkmcnt(0)
	s_and_b32 s0, s0, 0x3ff
	s_delay_alu instid0(SALU_CYCLE_1) | instskip(NEXT) | instid1(SALU_CYCLE_1)
	s_bitset1_b32 s0, 10
	s_mov_b32 m0, s0
	s_sendmsg sendmsg(MSG_INTERRUPT)
	s_mov_b32 m0, ttmp2
.LBB2_1560:                             ; =>This Inner Loop Header: Depth=1
	s_sethalt 5
	s_branch .LBB2_1560
.LBB2_1561:
	s_trap 2
	s_sendmsg_rtn_b32 s0, sendmsg(MSG_RTN_GET_DOORBELL)
	s_mov_b32 ttmp2, m0
	s_waitcnt lgkmcnt(0)
	s_and_b32 s0, s0, 0x3ff
	s_delay_alu instid0(SALU_CYCLE_1) | instskip(NEXT) | instid1(SALU_CYCLE_1)
	s_bitset1_b32 s0, 10
	s_mov_b32 m0, s0
	s_sendmsg sendmsg(MSG_INTERRUPT)
	s_mov_b32 m0, ttmp2
.LBB2_1562:                             ; =>This Inner Loop Header: Depth=1
	s_sethalt 5
	s_branch .LBB2_1562
.LBB2_1563:
	s_trap 2
	s_sendmsg_rtn_b32 s0, sendmsg(MSG_RTN_GET_DOORBELL)
	s_mov_b32 ttmp2, m0
	s_waitcnt lgkmcnt(0)
	s_and_b32 s0, s0, 0x3ff
	s_delay_alu instid0(SALU_CYCLE_1) | instskip(NEXT) | instid1(SALU_CYCLE_1)
	s_bitset1_b32 s0, 10
	s_mov_b32 m0, s0
	s_sendmsg sendmsg(MSG_INTERRUPT)
	s_mov_b32 m0, ttmp2
.LBB2_1564:                             ; =>This Inner Loop Header: Depth=1
	s_sethalt 5
	s_branch .LBB2_1564
.LBB2_1565:
	s_trap 2
	s_sendmsg_rtn_b32 s0, sendmsg(MSG_RTN_GET_DOORBELL)
	s_mov_b32 ttmp2, m0
	s_waitcnt lgkmcnt(0)
	s_and_b32 s0, s0, 0x3ff
	s_delay_alu instid0(SALU_CYCLE_1) | instskip(NEXT) | instid1(SALU_CYCLE_1)
	s_bitset1_b32 s0, 10
	s_mov_b32 m0, s0
	s_sendmsg sendmsg(MSG_INTERRUPT)
	s_mov_b32 m0, ttmp2
.LBB2_1566:                             ; =>This Inner Loop Header: Depth=1
	s_sethalt 5
	s_branch .LBB2_1566
.LBB2_1567:
	s_trap 2
	s_sendmsg_rtn_b32 s0, sendmsg(MSG_RTN_GET_DOORBELL)
	s_mov_b32 ttmp2, m0
	s_waitcnt lgkmcnt(0)
	s_and_b32 s0, s0, 0x3ff
	s_delay_alu instid0(SALU_CYCLE_1) | instskip(NEXT) | instid1(SALU_CYCLE_1)
	s_bitset1_b32 s0, 10
	s_mov_b32 m0, s0
	s_sendmsg sendmsg(MSG_INTERRUPT)
	s_mov_b32 m0, ttmp2
.LBB2_1568:                             ; =>This Inner Loop Header: Depth=1
	s_sethalt 5
	s_branch .LBB2_1568
.LBB2_1569:
	s_trap 2
	s_sendmsg_rtn_b32 s0, sendmsg(MSG_RTN_GET_DOORBELL)
	s_mov_b32 ttmp2, m0
	s_waitcnt lgkmcnt(0)
	s_and_b32 s0, s0, 0x3ff
	s_delay_alu instid0(SALU_CYCLE_1) | instskip(NEXT) | instid1(SALU_CYCLE_1)
	s_bitset1_b32 s0, 10
	s_mov_b32 m0, s0
	s_sendmsg sendmsg(MSG_INTERRUPT)
	s_mov_b32 m0, ttmp2
.LBB2_1570:                             ; =>This Inner Loop Header: Depth=1
	s_sethalt 5
	s_branch .LBB2_1570
.LBB2_1571:
	s_trap 2
	s_sendmsg_rtn_b32 s0, sendmsg(MSG_RTN_GET_DOORBELL)
	s_mov_b32 ttmp2, m0
	s_waitcnt lgkmcnt(0)
	s_and_b32 s0, s0, 0x3ff
	s_delay_alu instid0(SALU_CYCLE_1) | instskip(NEXT) | instid1(SALU_CYCLE_1)
	s_bitset1_b32 s0, 10
	s_mov_b32 m0, s0
	s_sendmsg sendmsg(MSG_INTERRUPT)
	s_mov_b32 m0, ttmp2
.LBB2_1572:                             ; =>This Inner Loop Header: Depth=1
	s_sethalt 5
	s_branch .LBB2_1572
.LBB2_1573:
	s_trap 2
	s_sendmsg_rtn_b32 s0, sendmsg(MSG_RTN_GET_DOORBELL)
	s_mov_b32 ttmp2, m0
	s_waitcnt lgkmcnt(0)
	s_and_b32 s0, s0, 0x3ff
	s_delay_alu instid0(SALU_CYCLE_1) | instskip(NEXT) | instid1(SALU_CYCLE_1)
	s_bitset1_b32 s0, 10
	s_mov_b32 m0, s0
	s_sendmsg sendmsg(MSG_INTERRUPT)
	s_mov_b32 m0, ttmp2
.LBB2_1574:                             ; =>This Inner Loop Header: Depth=1
	s_sethalt 5
	s_branch .LBB2_1574
.LBB2_1575:
	s_trap 2
	s_sendmsg_rtn_b32 s0, sendmsg(MSG_RTN_GET_DOORBELL)
	s_mov_b32 ttmp2, m0
	s_waitcnt lgkmcnt(0)
	s_and_b32 s0, s0, 0x3ff
	s_delay_alu instid0(SALU_CYCLE_1) | instskip(NEXT) | instid1(SALU_CYCLE_1)
	s_bitset1_b32 s0, 10
	s_mov_b32 m0, s0
	s_sendmsg sendmsg(MSG_INTERRUPT)
	s_mov_b32 m0, ttmp2
.LBB2_1576:                             ; =>This Inner Loop Header: Depth=1
	s_sethalt 5
	s_branch .LBB2_1576
.LBB2_1577:
	s_trap 2
	s_sendmsg_rtn_b32 s0, sendmsg(MSG_RTN_GET_DOORBELL)
	s_mov_b32 ttmp2, m0
	s_waitcnt lgkmcnt(0)
	s_and_b32 s0, s0, 0x3ff
	s_delay_alu instid0(SALU_CYCLE_1) | instskip(NEXT) | instid1(SALU_CYCLE_1)
	s_bitset1_b32 s0, 10
	s_mov_b32 m0, s0
	s_sendmsg sendmsg(MSG_INTERRUPT)
	s_mov_b32 m0, ttmp2
.LBB2_1578:                             ; =>This Inner Loop Header: Depth=1
	s_sethalt 5
	s_branch .LBB2_1578
.LBB2_1579:
	s_trap 2
	s_sendmsg_rtn_b32 s0, sendmsg(MSG_RTN_GET_DOORBELL)
	s_mov_b32 ttmp2, m0
	s_waitcnt lgkmcnt(0)
	s_and_b32 s0, s0, 0x3ff
	s_delay_alu instid0(SALU_CYCLE_1) | instskip(NEXT) | instid1(SALU_CYCLE_1)
	s_bitset1_b32 s0, 10
	s_mov_b32 m0, s0
	s_sendmsg sendmsg(MSG_INTERRUPT)
	s_mov_b32 m0, ttmp2
.LBB2_1580:                             ; =>This Inner Loop Header: Depth=1
	s_sethalt 5
	s_branch .LBB2_1580
.LBB2_1581:
	s_trap 2
	s_sendmsg_rtn_b32 s0, sendmsg(MSG_RTN_GET_DOORBELL)
	s_mov_b32 ttmp2, m0
	s_waitcnt lgkmcnt(0)
	s_and_b32 s0, s0, 0x3ff
	s_delay_alu instid0(SALU_CYCLE_1) | instskip(NEXT) | instid1(SALU_CYCLE_1)
	s_bitset1_b32 s0, 10
	s_mov_b32 m0, s0
	s_sendmsg sendmsg(MSG_INTERRUPT)
	s_mov_b32 m0, ttmp2
.LBB2_1582:                             ; =>This Inner Loop Header: Depth=1
	s_sethalt 5
	s_branch .LBB2_1582
.LBB2_1583:
	s_trap 2
	s_sendmsg_rtn_b32 s0, sendmsg(MSG_RTN_GET_DOORBELL)
	s_mov_b32 ttmp2, m0
	s_waitcnt lgkmcnt(0)
	s_and_b32 s0, s0, 0x3ff
	s_delay_alu instid0(SALU_CYCLE_1) | instskip(NEXT) | instid1(SALU_CYCLE_1)
	s_bitset1_b32 s0, 10
	s_mov_b32 m0, s0
	s_sendmsg sendmsg(MSG_INTERRUPT)
	s_mov_b32 m0, ttmp2
.LBB2_1584:                             ; =>This Inner Loop Header: Depth=1
	s_sethalt 5
	s_branch .LBB2_1584
.LBB2_1585:
	s_trap 2
	s_sendmsg_rtn_b32 s0, sendmsg(MSG_RTN_GET_DOORBELL)
	s_mov_b32 ttmp2, m0
	s_waitcnt lgkmcnt(0)
	s_and_b32 s0, s0, 0x3ff
	s_delay_alu instid0(SALU_CYCLE_1) | instskip(NEXT) | instid1(SALU_CYCLE_1)
	s_bitset1_b32 s0, 10
	s_mov_b32 m0, s0
	s_sendmsg sendmsg(MSG_INTERRUPT)
	s_mov_b32 m0, ttmp2
.LBB2_1586:                             ; =>This Inner Loop Header: Depth=1
	s_sethalt 5
	s_branch .LBB2_1586
.LBB2_1587:
	s_trap 2
	s_sendmsg_rtn_b32 s0, sendmsg(MSG_RTN_GET_DOORBELL)
	s_mov_b32 ttmp2, m0
	s_waitcnt lgkmcnt(0)
	s_and_b32 s0, s0, 0x3ff
	s_delay_alu instid0(SALU_CYCLE_1) | instskip(NEXT) | instid1(SALU_CYCLE_1)
	s_bitset1_b32 s0, 10
	s_mov_b32 m0, s0
	s_sendmsg sendmsg(MSG_INTERRUPT)
	s_mov_b32 m0, ttmp2
.LBB2_1588:                             ; =>This Inner Loop Header: Depth=1
	s_sethalt 5
	s_branch .LBB2_1588
.LBB2_1589:
	s_trap 2
	s_sendmsg_rtn_b32 s0, sendmsg(MSG_RTN_GET_DOORBELL)
	s_mov_b32 ttmp2, m0
	s_waitcnt lgkmcnt(0)
	s_and_b32 s0, s0, 0x3ff
	s_delay_alu instid0(SALU_CYCLE_1) | instskip(NEXT) | instid1(SALU_CYCLE_1)
	s_bitset1_b32 s0, 10
	s_mov_b32 m0, s0
	s_sendmsg sendmsg(MSG_INTERRUPT)
	s_mov_b32 m0, ttmp2
.LBB2_1590:                             ; =>This Inner Loop Header: Depth=1
	s_sethalt 5
	s_branch .LBB2_1590
.LBB2_1591:
	s_trap 2
	s_sendmsg_rtn_b32 s0, sendmsg(MSG_RTN_GET_DOORBELL)
	s_mov_b32 ttmp2, m0
	s_waitcnt lgkmcnt(0)
	s_and_b32 s0, s0, 0x3ff
	s_delay_alu instid0(SALU_CYCLE_1) | instskip(NEXT) | instid1(SALU_CYCLE_1)
	s_bitset1_b32 s0, 10
	s_mov_b32 m0, s0
	s_sendmsg sendmsg(MSG_INTERRUPT)
	s_mov_b32 m0, ttmp2
.LBB2_1592:                             ; =>This Inner Loop Header: Depth=1
	s_sethalt 5
	s_branch .LBB2_1592
.LBB2_1593:
	s_trap 2
	s_sendmsg_rtn_b32 s0, sendmsg(MSG_RTN_GET_DOORBELL)
	s_mov_b32 ttmp2, m0
	s_waitcnt lgkmcnt(0)
	s_and_b32 s0, s0, 0x3ff
	s_delay_alu instid0(SALU_CYCLE_1) | instskip(NEXT) | instid1(SALU_CYCLE_1)
	s_bitset1_b32 s0, 10
	s_mov_b32 m0, s0
	s_sendmsg sendmsg(MSG_INTERRUPT)
	s_mov_b32 m0, ttmp2
.LBB2_1594:                             ; =>This Inner Loop Header: Depth=1
	s_sethalt 5
	s_branch .LBB2_1594
.LBB2_1595:
	s_trap 2
	s_sendmsg_rtn_b32 s0, sendmsg(MSG_RTN_GET_DOORBELL)
	s_mov_b32 ttmp2, m0
	s_waitcnt lgkmcnt(0)
	s_and_b32 s0, s0, 0x3ff
	s_delay_alu instid0(SALU_CYCLE_1) | instskip(NEXT) | instid1(SALU_CYCLE_1)
	s_bitset1_b32 s0, 10
	s_mov_b32 m0, s0
	s_sendmsg sendmsg(MSG_INTERRUPT)
	s_mov_b32 m0, ttmp2
.LBB2_1596:                             ; =>This Inner Loop Header: Depth=1
	s_sethalt 5
	s_branch .LBB2_1596
.LBB2_1597:
	s_trap 2
	s_sendmsg_rtn_b32 s0, sendmsg(MSG_RTN_GET_DOORBELL)
	s_mov_b32 ttmp2, m0
	s_waitcnt lgkmcnt(0)
	s_and_b32 s0, s0, 0x3ff
	s_delay_alu instid0(SALU_CYCLE_1) | instskip(NEXT) | instid1(SALU_CYCLE_1)
	s_bitset1_b32 s0, 10
	s_mov_b32 m0, s0
	s_sendmsg sendmsg(MSG_INTERRUPT)
	s_mov_b32 m0, ttmp2
.LBB2_1598:                             ; =>This Inner Loop Header: Depth=1
	s_sethalt 5
	s_branch .LBB2_1598
.LBB2_1599:
	s_trap 2
	s_sendmsg_rtn_b32 s0, sendmsg(MSG_RTN_GET_DOORBELL)
	s_mov_b32 ttmp2, m0
	s_waitcnt lgkmcnt(0)
	s_and_b32 s0, s0, 0x3ff
	s_delay_alu instid0(SALU_CYCLE_1) | instskip(NEXT) | instid1(SALU_CYCLE_1)
	s_bitset1_b32 s0, 10
	s_mov_b32 m0, s0
	s_sendmsg sendmsg(MSG_INTERRUPT)
	s_mov_b32 m0, ttmp2
.LBB2_1600:                             ; =>This Inner Loop Header: Depth=1
	s_sethalt 5
	s_branch .LBB2_1600
.LBB2_1601:
	s_trap 2
	s_sendmsg_rtn_b32 s0, sendmsg(MSG_RTN_GET_DOORBELL)
	s_mov_b32 ttmp2, m0
	s_waitcnt lgkmcnt(0)
	s_and_b32 s0, s0, 0x3ff
	s_delay_alu instid0(SALU_CYCLE_1) | instskip(NEXT) | instid1(SALU_CYCLE_1)
	s_bitset1_b32 s0, 10
	s_mov_b32 m0, s0
	s_sendmsg sendmsg(MSG_INTERRUPT)
	s_mov_b32 m0, ttmp2
.LBB2_1602:                             ; =>This Inner Loop Header: Depth=1
	s_sethalt 5
	s_branch .LBB2_1602
.LBB2_1603:
	s_trap 2
	s_sendmsg_rtn_b32 s0, sendmsg(MSG_RTN_GET_DOORBELL)
	s_mov_b32 ttmp2, m0
	s_waitcnt lgkmcnt(0)
	s_and_b32 s0, s0, 0x3ff
	s_delay_alu instid0(SALU_CYCLE_1) | instskip(NEXT) | instid1(SALU_CYCLE_1)
	s_bitset1_b32 s0, 10
	s_mov_b32 m0, s0
	s_sendmsg sendmsg(MSG_INTERRUPT)
	s_mov_b32 m0, ttmp2
.LBB2_1604:                             ; =>This Inner Loop Header: Depth=1
	s_sethalt 5
	s_branch .LBB2_1604
.LBB2_1605:
	s_trap 2
	s_sendmsg_rtn_b32 s0, sendmsg(MSG_RTN_GET_DOORBELL)
	s_mov_b32 ttmp2, m0
	s_waitcnt lgkmcnt(0)
	s_and_b32 s0, s0, 0x3ff
	s_delay_alu instid0(SALU_CYCLE_1) | instskip(NEXT) | instid1(SALU_CYCLE_1)
	s_bitset1_b32 s0, 10
	s_mov_b32 m0, s0
	s_sendmsg sendmsg(MSG_INTERRUPT)
	s_mov_b32 m0, ttmp2
.LBB2_1606:                             ; =>This Inner Loop Header: Depth=1
	s_sethalt 5
	s_branch .LBB2_1606
.LBB2_1607:
	s_trap 2
	s_sendmsg_rtn_b32 s0, sendmsg(MSG_RTN_GET_DOORBELL)
	s_mov_b32 ttmp2, m0
	s_waitcnt lgkmcnt(0)
	s_and_b32 s0, s0, 0x3ff
	s_delay_alu instid0(SALU_CYCLE_1) | instskip(NEXT) | instid1(SALU_CYCLE_1)
	s_bitset1_b32 s0, 10
	s_mov_b32 m0, s0
	s_sendmsg sendmsg(MSG_INTERRUPT)
	s_mov_b32 m0, ttmp2
.LBB2_1608:                             ; =>This Inner Loop Header: Depth=1
	s_sethalt 5
	s_branch .LBB2_1608
.LBB2_1609:
	s_trap 2
	s_sendmsg_rtn_b32 s0, sendmsg(MSG_RTN_GET_DOORBELL)
	s_mov_b32 ttmp2, m0
	s_waitcnt lgkmcnt(0)
	s_and_b32 s0, s0, 0x3ff
	s_delay_alu instid0(SALU_CYCLE_1) | instskip(NEXT) | instid1(SALU_CYCLE_1)
	s_bitset1_b32 s0, 10
	s_mov_b32 m0, s0
	s_sendmsg sendmsg(MSG_INTERRUPT)
	s_mov_b32 m0, ttmp2
.LBB2_1610:                             ; =>This Inner Loop Header: Depth=1
	s_sethalt 5
	s_branch .LBB2_1610
.LBB2_1611:
	s_trap 2
	s_sendmsg_rtn_b32 s0, sendmsg(MSG_RTN_GET_DOORBELL)
	s_mov_b32 ttmp2, m0
	s_waitcnt lgkmcnt(0)
	s_and_b32 s0, s0, 0x3ff
	s_delay_alu instid0(SALU_CYCLE_1) | instskip(NEXT) | instid1(SALU_CYCLE_1)
	s_bitset1_b32 s0, 10
	s_mov_b32 m0, s0
	s_sendmsg sendmsg(MSG_INTERRUPT)
	s_mov_b32 m0, ttmp2
.LBB2_1612:                             ; =>This Inner Loop Header: Depth=1
	s_sethalt 5
	s_branch .LBB2_1612
.LBB2_1613:
	s_trap 2
	s_sendmsg_rtn_b32 s0, sendmsg(MSG_RTN_GET_DOORBELL)
	s_mov_b32 ttmp2, m0
	s_waitcnt lgkmcnt(0)
	s_and_b32 s0, s0, 0x3ff
	s_delay_alu instid0(SALU_CYCLE_1) | instskip(NEXT) | instid1(SALU_CYCLE_1)
	s_bitset1_b32 s0, 10
	s_mov_b32 m0, s0
	s_sendmsg sendmsg(MSG_INTERRUPT)
	s_mov_b32 m0, ttmp2
.LBB2_1614:                             ; =>This Inner Loop Header: Depth=1
	s_sethalt 5
	s_branch .LBB2_1614
.LBB2_1615:
	s_trap 2
	s_sendmsg_rtn_b32 s0, sendmsg(MSG_RTN_GET_DOORBELL)
	s_mov_b32 ttmp2, m0
	s_waitcnt lgkmcnt(0)
	s_and_b32 s0, s0, 0x3ff
	s_delay_alu instid0(SALU_CYCLE_1) | instskip(NEXT) | instid1(SALU_CYCLE_1)
	s_bitset1_b32 s0, 10
	s_mov_b32 m0, s0
	s_sendmsg sendmsg(MSG_INTERRUPT)
	s_mov_b32 m0, ttmp2
.LBB2_1616:                             ; =>This Inner Loop Header: Depth=1
	s_sethalt 5
	s_branch .LBB2_1616
.LBB2_1617:
	s_trap 2
	s_sendmsg_rtn_b32 s0, sendmsg(MSG_RTN_GET_DOORBELL)
	s_mov_b32 ttmp2, m0
	s_waitcnt lgkmcnt(0)
	s_and_b32 s0, s0, 0x3ff
	s_delay_alu instid0(SALU_CYCLE_1) | instskip(NEXT) | instid1(SALU_CYCLE_1)
	s_bitset1_b32 s0, 10
	s_mov_b32 m0, s0
	s_sendmsg sendmsg(MSG_INTERRUPT)
	s_mov_b32 m0, ttmp2
.LBB2_1618:                             ; =>This Inner Loop Header: Depth=1
	s_sethalt 5
	s_branch .LBB2_1618
.LBB2_1619:
	s_trap 2
	s_sendmsg_rtn_b32 s0, sendmsg(MSG_RTN_GET_DOORBELL)
	s_mov_b32 ttmp2, m0
	s_waitcnt lgkmcnt(0)
	s_and_b32 s0, s0, 0x3ff
	s_delay_alu instid0(SALU_CYCLE_1) | instskip(NEXT) | instid1(SALU_CYCLE_1)
	s_bitset1_b32 s0, 10
	s_mov_b32 m0, s0
	s_sendmsg sendmsg(MSG_INTERRUPT)
	s_mov_b32 m0, ttmp2
.LBB2_1620:                             ; =>This Inner Loop Header: Depth=1
	s_sethalt 5
	s_branch .LBB2_1620
.LBB2_1621:
	s_trap 2
	s_sendmsg_rtn_b32 s0, sendmsg(MSG_RTN_GET_DOORBELL)
	s_mov_b32 ttmp2, m0
	s_waitcnt lgkmcnt(0)
	s_and_b32 s0, s0, 0x3ff
	s_delay_alu instid0(SALU_CYCLE_1) | instskip(NEXT) | instid1(SALU_CYCLE_1)
	s_bitset1_b32 s0, 10
	s_mov_b32 m0, s0
	s_sendmsg sendmsg(MSG_INTERRUPT)
	s_mov_b32 m0, ttmp2
.LBB2_1622:                             ; =>This Inner Loop Header: Depth=1
	s_sethalt 5
	s_branch .LBB2_1622
.LBB2_1623:
	s_trap 2
	s_sendmsg_rtn_b32 s0, sendmsg(MSG_RTN_GET_DOORBELL)
	s_mov_b32 ttmp2, m0
	s_waitcnt lgkmcnt(0)
	s_and_b32 s0, s0, 0x3ff
	s_delay_alu instid0(SALU_CYCLE_1) | instskip(NEXT) | instid1(SALU_CYCLE_1)
	s_bitset1_b32 s0, 10
	s_mov_b32 m0, s0
	s_sendmsg sendmsg(MSG_INTERRUPT)
	s_mov_b32 m0, ttmp2
.LBB2_1624:                             ; =>This Inner Loop Header: Depth=1
	s_sethalt 5
	s_branch .LBB2_1624
.LBB2_1625:
	s_trap 2
	s_sendmsg_rtn_b32 s0, sendmsg(MSG_RTN_GET_DOORBELL)
	s_mov_b32 ttmp2, m0
	s_waitcnt lgkmcnt(0)
	s_and_b32 s0, s0, 0x3ff
	s_delay_alu instid0(SALU_CYCLE_1) | instskip(NEXT) | instid1(SALU_CYCLE_1)
	s_bitset1_b32 s0, 10
	s_mov_b32 m0, s0
	s_sendmsg sendmsg(MSG_INTERRUPT)
	s_mov_b32 m0, ttmp2
.LBB2_1626:                             ; =>This Inner Loop Header: Depth=1
	s_sethalt 5
	s_branch .LBB2_1626
.LBB2_1627:
	s_trap 2
	s_sendmsg_rtn_b32 s0, sendmsg(MSG_RTN_GET_DOORBELL)
	s_mov_b32 ttmp2, m0
	s_waitcnt lgkmcnt(0)
	s_and_b32 s0, s0, 0x3ff
	s_delay_alu instid0(SALU_CYCLE_1) | instskip(NEXT) | instid1(SALU_CYCLE_1)
	s_bitset1_b32 s0, 10
	s_mov_b32 m0, s0
	s_sendmsg sendmsg(MSG_INTERRUPT)
	s_mov_b32 m0, ttmp2
.LBB2_1628:                             ; =>This Inner Loop Header: Depth=1
	s_sethalt 5
	s_branch .LBB2_1628
.LBB2_1629:
	s_trap 2
	s_sendmsg_rtn_b32 s0, sendmsg(MSG_RTN_GET_DOORBELL)
	s_mov_b32 ttmp2, m0
	s_waitcnt lgkmcnt(0)
	s_and_b32 s0, s0, 0x3ff
	s_delay_alu instid0(SALU_CYCLE_1) | instskip(NEXT) | instid1(SALU_CYCLE_1)
	s_bitset1_b32 s0, 10
	s_mov_b32 m0, s0
	s_sendmsg sendmsg(MSG_INTERRUPT)
	s_mov_b32 m0, ttmp2
.LBB2_1630:                             ; =>This Inner Loop Header: Depth=1
	s_sethalt 5
	s_branch .LBB2_1630
.LBB2_1631:
	s_trap 2
	s_sendmsg_rtn_b32 s0, sendmsg(MSG_RTN_GET_DOORBELL)
	s_mov_b32 ttmp2, m0
	s_waitcnt lgkmcnt(0)
	s_and_b32 s0, s0, 0x3ff
	s_delay_alu instid0(SALU_CYCLE_1) | instskip(NEXT) | instid1(SALU_CYCLE_1)
	s_bitset1_b32 s0, 10
	s_mov_b32 m0, s0
	s_sendmsg sendmsg(MSG_INTERRUPT)
	s_mov_b32 m0, ttmp2
.LBB2_1632:                             ; =>This Inner Loop Header: Depth=1
	s_sethalt 5
	s_branch .LBB2_1632
.LBB2_1633:
	s_trap 2
	s_sendmsg_rtn_b32 s0, sendmsg(MSG_RTN_GET_DOORBELL)
	s_mov_b32 ttmp2, m0
	s_waitcnt lgkmcnt(0)
	s_and_b32 s0, s0, 0x3ff
	s_delay_alu instid0(SALU_CYCLE_1) | instskip(NEXT) | instid1(SALU_CYCLE_1)
	s_bitset1_b32 s0, 10
	s_mov_b32 m0, s0
	s_sendmsg sendmsg(MSG_INTERRUPT)
	s_mov_b32 m0, ttmp2
.LBB2_1634:                             ; =>This Inner Loop Header: Depth=1
	s_sethalt 5
	s_branch .LBB2_1634
.LBB2_1635:
	s_trap 2
	s_sendmsg_rtn_b32 s0, sendmsg(MSG_RTN_GET_DOORBELL)
	s_mov_b32 ttmp2, m0
	s_waitcnt lgkmcnt(0)
	s_and_b32 s0, s0, 0x3ff
	s_delay_alu instid0(SALU_CYCLE_1) | instskip(NEXT) | instid1(SALU_CYCLE_1)
	s_bitset1_b32 s0, 10
	s_mov_b32 m0, s0
	s_sendmsg sendmsg(MSG_INTERRUPT)
	s_mov_b32 m0, ttmp2
.LBB2_1636:                             ; =>This Inner Loop Header: Depth=1
	s_sethalt 5
	s_branch .LBB2_1636
.LBB2_1637:
	s_trap 2
	s_sendmsg_rtn_b32 s0, sendmsg(MSG_RTN_GET_DOORBELL)
	s_mov_b32 ttmp2, m0
	s_waitcnt lgkmcnt(0)
	s_and_b32 s0, s0, 0x3ff
	s_delay_alu instid0(SALU_CYCLE_1) | instskip(NEXT) | instid1(SALU_CYCLE_1)
	s_bitset1_b32 s0, 10
	s_mov_b32 m0, s0
	s_sendmsg sendmsg(MSG_INTERRUPT)
	s_mov_b32 m0, ttmp2
.LBB2_1638:                             ; =>This Inner Loop Header: Depth=1
	s_sethalt 5
	s_branch .LBB2_1638
.LBB2_1639:
	s_trap 2
	s_sendmsg_rtn_b32 s0, sendmsg(MSG_RTN_GET_DOORBELL)
	s_mov_b32 ttmp2, m0
	s_waitcnt lgkmcnt(0)
	s_and_b32 s0, s0, 0x3ff
	s_delay_alu instid0(SALU_CYCLE_1) | instskip(NEXT) | instid1(SALU_CYCLE_1)
	s_bitset1_b32 s0, 10
	s_mov_b32 m0, s0
	s_sendmsg sendmsg(MSG_INTERRUPT)
	s_mov_b32 m0, ttmp2
.LBB2_1640:                             ; =>This Inner Loop Header: Depth=1
	s_sethalt 5
	s_branch .LBB2_1640
.LBB2_1641:
	s_trap 2
	s_sendmsg_rtn_b32 s0, sendmsg(MSG_RTN_GET_DOORBELL)
	s_mov_b32 ttmp2, m0
	s_waitcnt lgkmcnt(0)
	s_and_b32 s0, s0, 0x3ff
	s_delay_alu instid0(SALU_CYCLE_1) | instskip(NEXT) | instid1(SALU_CYCLE_1)
	s_bitset1_b32 s0, 10
	s_mov_b32 m0, s0
	s_sendmsg sendmsg(MSG_INTERRUPT)
	s_mov_b32 m0, ttmp2
.LBB2_1642:                             ; =>This Inner Loop Header: Depth=1
	s_sethalt 5
	s_branch .LBB2_1642
.LBB2_1643:
	s_trap 2
	s_sendmsg_rtn_b32 s0, sendmsg(MSG_RTN_GET_DOORBELL)
	s_mov_b32 ttmp2, m0
	s_waitcnt lgkmcnt(0)
	s_and_b32 s0, s0, 0x3ff
	s_delay_alu instid0(SALU_CYCLE_1) | instskip(NEXT) | instid1(SALU_CYCLE_1)
	s_bitset1_b32 s0, 10
	s_mov_b32 m0, s0
	s_sendmsg sendmsg(MSG_INTERRUPT)
	s_mov_b32 m0, ttmp2
.LBB2_1644:                             ; =>This Inner Loop Header: Depth=1
	s_sethalt 5
	s_branch .LBB2_1644
.LBB2_1645:
	s_trap 2
	s_sendmsg_rtn_b32 s0, sendmsg(MSG_RTN_GET_DOORBELL)
	s_mov_b32 ttmp2, m0
	s_waitcnt lgkmcnt(0)
	s_and_b32 s0, s0, 0x3ff
	s_delay_alu instid0(SALU_CYCLE_1) | instskip(NEXT) | instid1(SALU_CYCLE_1)
	s_bitset1_b32 s0, 10
	s_mov_b32 m0, s0
	s_sendmsg sendmsg(MSG_INTERRUPT)
	s_mov_b32 m0, ttmp2
.LBB2_1646:                             ; =>This Inner Loop Header: Depth=1
	s_sethalt 5
	s_branch .LBB2_1646
.LBB2_1647:
	s_trap 2
	s_sendmsg_rtn_b32 s0, sendmsg(MSG_RTN_GET_DOORBELL)
	s_mov_b32 ttmp2, m0
	s_waitcnt lgkmcnt(0)
	s_and_b32 s0, s0, 0x3ff
	s_delay_alu instid0(SALU_CYCLE_1) | instskip(NEXT) | instid1(SALU_CYCLE_1)
	s_bitset1_b32 s0, 10
	s_mov_b32 m0, s0
	s_sendmsg sendmsg(MSG_INTERRUPT)
	s_mov_b32 m0, ttmp2
.LBB2_1648:                             ; =>This Inner Loop Header: Depth=1
	s_sethalt 5
	s_branch .LBB2_1648
.LBB2_1649:
	s_trap 2
	s_sendmsg_rtn_b32 s0, sendmsg(MSG_RTN_GET_DOORBELL)
	s_mov_b32 ttmp2, m0
	s_waitcnt lgkmcnt(0)
	s_and_b32 s0, s0, 0x3ff
	s_delay_alu instid0(SALU_CYCLE_1) | instskip(NEXT) | instid1(SALU_CYCLE_1)
	s_bitset1_b32 s0, 10
	s_mov_b32 m0, s0
	s_sendmsg sendmsg(MSG_INTERRUPT)
	s_mov_b32 m0, ttmp2
.LBB2_1650:                             ; =>This Inner Loop Header: Depth=1
	s_sethalt 5
	s_branch .LBB2_1650
.LBB2_1651:
	s_trap 2
	s_sendmsg_rtn_b32 s0, sendmsg(MSG_RTN_GET_DOORBELL)
	s_mov_b32 ttmp2, m0
	s_waitcnt lgkmcnt(0)
	s_and_b32 s0, s0, 0x3ff
	s_delay_alu instid0(SALU_CYCLE_1) | instskip(NEXT) | instid1(SALU_CYCLE_1)
	s_bitset1_b32 s0, 10
	s_mov_b32 m0, s0
	s_sendmsg sendmsg(MSG_INTERRUPT)
	s_mov_b32 m0, ttmp2
.LBB2_1652:                             ; =>This Inner Loop Header: Depth=1
	s_sethalt 5
	s_branch .LBB2_1652
.LBB2_1653:
	s_trap 2
	s_sendmsg_rtn_b32 s0, sendmsg(MSG_RTN_GET_DOORBELL)
	s_mov_b32 ttmp2, m0
	s_waitcnt lgkmcnt(0)
	s_and_b32 s0, s0, 0x3ff
	s_delay_alu instid0(SALU_CYCLE_1) | instskip(NEXT) | instid1(SALU_CYCLE_1)
	s_bitset1_b32 s0, 10
	s_mov_b32 m0, s0
	s_sendmsg sendmsg(MSG_INTERRUPT)
	s_mov_b32 m0, ttmp2
.LBB2_1654:                             ; =>This Inner Loop Header: Depth=1
	s_sethalt 5
	s_branch .LBB2_1654
.LBB2_1655:
	s_trap 2
	s_sendmsg_rtn_b32 s0, sendmsg(MSG_RTN_GET_DOORBELL)
	s_mov_b32 ttmp2, m0
	s_waitcnt lgkmcnt(0)
	s_and_b32 s0, s0, 0x3ff
	s_delay_alu instid0(SALU_CYCLE_1) | instskip(NEXT) | instid1(SALU_CYCLE_1)
	s_bitset1_b32 s0, 10
	s_mov_b32 m0, s0
	s_sendmsg sendmsg(MSG_INTERRUPT)
	s_mov_b32 m0, ttmp2
.LBB2_1656:                             ; =>This Inner Loop Header: Depth=1
	s_sethalt 5
	s_branch .LBB2_1656
.LBB2_1657:
	s_trap 2
	s_sendmsg_rtn_b32 s0, sendmsg(MSG_RTN_GET_DOORBELL)
	s_mov_b32 ttmp2, m0
	s_waitcnt lgkmcnt(0)
	s_and_b32 s0, s0, 0x3ff
	s_delay_alu instid0(SALU_CYCLE_1) | instskip(NEXT) | instid1(SALU_CYCLE_1)
	s_bitset1_b32 s0, 10
	s_mov_b32 m0, s0
	s_sendmsg sendmsg(MSG_INTERRUPT)
	s_mov_b32 m0, ttmp2
.LBB2_1658:                             ; =>This Inner Loop Header: Depth=1
	s_sethalt 5
	s_branch .LBB2_1658
.LBB2_1659:
	s_trap 2
	s_sendmsg_rtn_b32 s0, sendmsg(MSG_RTN_GET_DOORBELL)
	s_mov_b32 ttmp2, m0
	s_waitcnt lgkmcnt(0)
	s_and_b32 s0, s0, 0x3ff
	s_delay_alu instid0(SALU_CYCLE_1) | instskip(NEXT) | instid1(SALU_CYCLE_1)
	s_bitset1_b32 s0, 10
	s_mov_b32 m0, s0
	s_sendmsg sendmsg(MSG_INTERRUPT)
	s_mov_b32 m0, ttmp2
.LBB2_1660:                             ; =>This Inner Loop Header: Depth=1
	s_sethalt 5
	s_branch .LBB2_1660
.LBB2_1661:
	s_trap 2
	s_sendmsg_rtn_b32 s0, sendmsg(MSG_RTN_GET_DOORBELL)
	s_mov_b32 ttmp2, m0
	s_waitcnt lgkmcnt(0)
	s_and_b32 s0, s0, 0x3ff
	s_delay_alu instid0(SALU_CYCLE_1) | instskip(NEXT) | instid1(SALU_CYCLE_1)
	s_bitset1_b32 s0, 10
	s_mov_b32 m0, s0
	s_sendmsg sendmsg(MSG_INTERRUPT)
	s_mov_b32 m0, ttmp2
.LBB2_1662:                             ; =>This Inner Loop Header: Depth=1
	s_sethalt 5
	s_branch .LBB2_1662
.LBB2_1663:
	s_trap 2
	s_sendmsg_rtn_b32 s0, sendmsg(MSG_RTN_GET_DOORBELL)
	s_mov_b32 ttmp2, m0
	s_waitcnt lgkmcnt(0)
	s_and_b32 s0, s0, 0x3ff
	s_delay_alu instid0(SALU_CYCLE_1) | instskip(NEXT) | instid1(SALU_CYCLE_1)
	s_bitset1_b32 s0, 10
	s_mov_b32 m0, s0
	s_sendmsg sendmsg(MSG_INTERRUPT)
	s_mov_b32 m0, ttmp2
.LBB2_1664:                             ; =>This Inner Loop Header: Depth=1
	s_sethalt 5
	s_branch .LBB2_1664
.LBB2_1665:
	s_or_b32 exec_lo, exec_lo, s4
	s_and_saveexec_b32 s4, s5
	s_delay_alu instid0(SALU_CYCLE_1)
	s_xor_b32 s4, exec_lo, s4
	s_cbranch_execz .LBB2_1667
; %bb.1666:
	v_mov_b32_e32 v0, 1
	ds_store_b32 v0, v0
	s_cbranch_execnz .LBB2_1755
.LBB2_1667:
	s_or_b32 exec_lo, exec_lo, s3
	;;#ASMSTART
	s_wakeup
	;;#ASMEND
.LBB2_1668:
	s_or_b32 exec_lo, exec_lo, s2
.LBB2_1669:
	s_and_not1_saveexec_b32 s1, s1
	s_cbranch_execz .LBB2_1671
; %bb.1670:
	s_waitcnt lgkmcnt(0)
	s_waitcnt_vscnt null, 0x0
	buffer_gl1_inv
	buffer_gl0_inv
	s_barrier
.LBB2_1671:
	s_or_b32 exec_lo, exec_lo, s0
.LBB2_1672:
	s_and_not1_saveexec_b32 s21, s18
	s_cbranch_execz .LBB2_1674
; %bb.1673:
	s_getpc_b64 s[0:1]
	s_add_u32 s0, s0, __PRETTY_FUNCTION__._ZN10PrimitivesId10FuncMinMaxIdE12FanSymmetricILi1EELi0E11ProtoSimpleILi2ELi2ELi0ELi1ELi0ELi0EELi0ELb0ELi0ELi0ELi0EEC2EiiPKiS8_PKvPvmhhhP15ncclDevWorkCollP14ncclDevWorkP2pii@rel32@lo+4
	s_addc_u32 s1, s1, __PRETTY_FUNCTION__._ZN10PrimitivesId10FuncMinMaxIdE12FanSymmetricILi1EELi0E11ProtoSimpleILi2ELi2ELi0ELi1ELi0ELi0EELi0ELb0ELi0ELi0ELi0EEC2EiiPKiS8_PKvPvmhhhP15ncclDevWorkCollP14ncclDevWorkP2pii@rel32@hi+12
	s_delay_alu instid0(SALU_CYCLE_1) | instskip(SKIP_3) | instid1(SALU_CYCLE_1)
	v_dual_mov_b32 v0, s0 :: v_dual_mov_b32 v1, s1
	s_getpc_b64 s[2:3]
	s_add_u32 s2, s2, __assert_fail@rel32@lo+4
	s_addc_u32 s3, s3, __assert_fail@rel32@hi+12
	s_swappc_b64 s[30:31], s[2:3]
	; divergent unreachable
.LBB2_1674:
	s_or_b32 exec_lo, exec_lo, s21
	scratch_load_b32 v40, off, s33          ; 4-byte Folded Reload
	v_readlane_b32 s30, v41, 7
	v_readlane_b32 s31, v41, 8
	;; [unrolled: 1-line block ×10, first 2 shown]
	s_or_saveexec_b32 s1, -1
	s_clause 0x1
	scratch_load_b32 v41, off, s33 offset:4
	scratch_load_b32 v42, off, s33 offset:8
	s_mov_b32 exec_lo, s1
	s_add_i32 s32, s32, -16
	s_mov_b32 s33, s0
	s_waitcnt vmcnt(0) lgkmcnt(0)
	s_setpc_b64 s[30:31]
.LBB2_1675:
	s_trap 2
	s_sendmsg_rtn_b32 s0, sendmsg(MSG_RTN_GET_DOORBELL)
	s_mov_b32 ttmp2, m0
	s_waitcnt lgkmcnt(0)
	s_and_b32 s0, s0, 0x3ff
	s_delay_alu instid0(SALU_CYCLE_1) | instskip(NEXT) | instid1(SALU_CYCLE_1)
	s_bitset1_b32 s0, 10
	s_mov_b32 m0, s0
	s_sendmsg sendmsg(MSG_INTERRUPT)
	s_mov_b32 m0, ttmp2
.LBB2_1676:                             ; =>This Inner Loop Header: Depth=1
	s_sethalt 5
	s_branch .LBB2_1676
.LBB2_1677:
	s_trap 2
	s_sendmsg_rtn_b32 s0, sendmsg(MSG_RTN_GET_DOORBELL)
	s_mov_b32 ttmp2, m0
	s_waitcnt lgkmcnt(0)
	s_and_b32 s0, s0, 0x3ff
	s_delay_alu instid0(SALU_CYCLE_1) | instskip(NEXT) | instid1(SALU_CYCLE_1)
	s_bitset1_b32 s0, 10
	s_mov_b32 m0, s0
	s_sendmsg sendmsg(MSG_INTERRUPT)
	s_mov_b32 m0, ttmp2
.LBB2_1678:                             ; =>This Inner Loop Header: Depth=1
	s_sethalt 5
	s_branch .LBB2_1678
.LBB2_1679:
	s_trap 2
	s_sendmsg_rtn_b32 s0, sendmsg(MSG_RTN_GET_DOORBELL)
	s_mov_b32 ttmp2, m0
	s_waitcnt lgkmcnt(0)
	s_and_b32 s0, s0, 0x3ff
	s_delay_alu instid0(SALU_CYCLE_1) | instskip(NEXT) | instid1(SALU_CYCLE_1)
	s_bitset1_b32 s0, 10
	s_mov_b32 m0, s0
	s_sendmsg sendmsg(MSG_INTERRUPT)
	s_mov_b32 m0, ttmp2
.LBB2_1680:                             ; =>This Inner Loop Header: Depth=1
	s_sethalt 5
	s_branch .LBB2_1680
.LBB2_1681:
	s_trap 2
	s_sendmsg_rtn_b32 s0, sendmsg(MSG_RTN_GET_DOORBELL)
	s_mov_b32 ttmp2, m0
	s_waitcnt lgkmcnt(0)
	s_and_b32 s0, s0, 0x3ff
	s_delay_alu instid0(SALU_CYCLE_1) | instskip(NEXT) | instid1(SALU_CYCLE_1)
	s_bitset1_b32 s0, 10
	s_mov_b32 m0, s0
	s_sendmsg sendmsg(MSG_INTERRUPT)
	s_mov_b32 m0, ttmp2
.LBB2_1682:                             ; =>This Inner Loop Header: Depth=1
	s_sethalt 5
	s_branch .LBB2_1682
.LBB2_1683:
	s_trap 2
	s_sendmsg_rtn_b32 s0, sendmsg(MSG_RTN_GET_DOORBELL)
	s_mov_b32 ttmp2, m0
	s_waitcnt lgkmcnt(0)
	s_and_b32 s0, s0, 0x3ff
	s_delay_alu instid0(SALU_CYCLE_1) | instskip(NEXT) | instid1(SALU_CYCLE_1)
	s_bitset1_b32 s0, 10
	s_mov_b32 m0, s0
	s_sendmsg sendmsg(MSG_INTERRUPT)
	s_mov_b32 m0, ttmp2
.LBB2_1684:                             ; =>This Inner Loop Header: Depth=1
	s_sethalt 5
	s_branch .LBB2_1684
.LBB2_1685:
	s_trap 2
	s_sendmsg_rtn_b32 s0, sendmsg(MSG_RTN_GET_DOORBELL)
	s_mov_b32 ttmp2, m0
	s_waitcnt lgkmcnt(0)
	s_and_b32 s0, s0, 0x3ff
	s_delay_alu instid0(SALU_CYCLE_1) | instskip(NEXT) | instid1(SALU_CYCLE_1)
	s_bitset1_b32 s0, 10
	s_mov_b32 m0, s0
	s_sendmsg sendmsg(MSG_INTERRUPT)
	s_mov_b32 m0, ttmp2
.LBB2_1686:                             ; =>This Inner Loop Header: Depth=1
	s_sethalt 5
	s_branch .LBB2_1686
.LBB2_1687:
	s_trap 2
	s_sendmsg_rtn_b32 s0, sendmsg(MSG_RTN_GET_DOORBELL)
	s_mov_b32 ttmp2, m0
	s_waitcnt lgkmcnt(0)
	s_and_b32 s0, s0, 0x3ff
	s_delay_alu instid0(SALU_CYCLE_1) | instskip(NEXT) | instid1(SALU_CYCLE_1)
	s_bitset1_b32 s0, 10
	s_mov_b32 m0, s0
	s_sendmsg sendmsg(MSG_INTERRUPT)
	s_mov_b32 m0, ttmp2
.LBB2_1688:                             ; =>This Inner Loop Header: Depth=1
	s_sethalt 5
	s_branch .LBB2_1688
.LBB2_1689:
	s_trap 2
	s_sendmsg_rtn_b32 s0, sendmsg(MSG_RTN_GET_DOORBELL)
	s_mov_b32 ttmp2, m0
	s_waitcnt lgkmcnt(0)
	s_and_b32 s0, s0, 0x3ff
	s_delay_alu instid0(SALU_CYCLE_1) | instskip(NEXT) | instid1(SALU_CYCLE_1)
	s_bitset1_b32 s0, 10
	s_mov_b32 m0, s0
	s_sendmsg sendmsg(MSG_INTERRUPT)
	s_mov_b32 m0, ttmp2
.LBB2_1690:                             ; =>This Inner Loop Header: Depth=1
	s_sethalt 5
	s_branch .LBB2_1690
.LBB2_1691:
	s_trap 2
	s_sendmsg_rtn_b32 s0, sendmsg(MSG_RTN_GET_DOORBELL)
	s_mov_b32 ttmp2, m0
	s_waitcnt lgkmcnt(0)
	s_and_b32 s0, s0, 0x3ff
	s_delay_alu instid0(SALU_CYCLE_1) | instskip(NEXT) | instid1(SALU_CYCLE_1)
	s_bitset1_b32 s0, 10
	s_mov_b32 m0, s0
	s_sendmsg sendmsg(MSG_INTERRUPT)
	s_mov_b32 m0, ttmp2
.LBB2_1692:                             ; =>This Inner Loop Header: Depth=1
	s_sethalt 5
	s_branch .LBB2_1692
.LBB2_1693:
	s_trap 2
	s_sendmsg_rtn_b32 s0, sendmsg(MSG_RTN_GET_DOORBELL)
	s_mov_b32 ttmp2, m0
	s_waitcnt lgkmcnt(0)
	s_and_b32 s0, s0, 0x3ff
	s_delay_alu instid0(SALU_CYCLE_1) | instskip(NEXT) | instid1(SALU_CYCLE_1)
	s_bitset1_b32 s0, 10
	s_mov_b32 m0, s0
	s_sendmsg sendmsg(MSG_INTERRUPT)
	s_mov_b32 m0, ttmp2
.LBB2_1694:                             ; =>This Inner Loop Header: Depth=1
	s_sethalt 5
	s_branch .LBB2_1694
.LBB2_1695:
	s_trap 2
	s_sendmsg_rtn_b32 s0, sendmsg(MSG_RTN_GET_DOORBELL)
	s_mov_b32 ttmp2, m0
	s_waitcnt lgkmcnt(0)
	s_and_b32 s0, s0, 0x3ff
	s_delay_alu instid0(SALU_CYCLE_1) | instskip(NEXT) | instid1(SALU_CYCLE_1)
	s_bitset1_b32 s0, 10
	s_mov_b32 m0, s0
	s_sendmsg sendmsg(MSG_INTERRUPT)
	s_mov_b32 m0, ttmp2
.LBB2_1696:                             ; =>This Inner Loop Header: Depth=1
	s_sethalt 5
	s_branch .LBB2_1696
.LBB2_1697:
	s_trap 2
	s_sendmsg_rtn_b32 s0, sendmsg(MSG_RTN_GET_DOORBELL)
	s_mov_b32 ttmp2, m0
	s_waitcnt lgkmcnt(0)
	s_and_b32 s0, s0, 0x3ff
	s_delay_alu instid0(SALU_CYCLE_1) | instskip(NEXT) | instid1(SALU_CYCLE_1)
	s_bitset1_b32 s0, 10
	s_mov_b32 m0, s0
	s_sendmsg sendmsg(MSG_INTERRUPT)
	s_mov_b32 m0, ttmp2
.LBB2_1698:                             ; =>This Inner Loop Header: Depth=1
	s_sethalt 5
	s_branch .LBB2_1698
.LBB2_1699:
	s_trap 2
	s_sendmsg_rtn_b32 s0, sendmsg(MSG_RTN_GET_DOORBELL)
	s_mov_b32 ttmp2, m0
	s_waitcnt lgkmcnt(0)
	s_and_b32 s0, s0, 0x3ff
	s_delay_alu instid0(SALU_CYCLE_1) | instskip(NEXT) | instid1(SALU_CYCLE_1)
	s_bitset1_b32 s0, 10
	s_mov_b32 m0, s0
	s_sendmsg sendmsg(MSG_INTERRUPT)
	s_mov_b32 m0, ttmp2
.LBB2_1700:                             ; =>This Inner Loop Header: Depth=1
	s_sethalt 5
	s_branch .LBB2_1700
.LBB2_1701:
	s_trap 2
	s_sendmsg_rtn_b32 s0, sendmsg(MSG_RTN_GET_DOORBELL)
	s_mov_b32 ttmp2, m0
	s_waitcnt lgkmcnt(0)
	s_and_b32 s0, s0, 0x3ff
	s_delay_alu instid0(SALU_CYCLE_1) | instskip(NEXT) | instid1(SALU_CYCLE_1)
	s_bitset1_b32 s0, 10
	s_mov_b32 m0, s0
	s_sendmsg sendmsg(MSG_INTERRUPT)
	s_mov_b32 m0, ttmp2
.LBB2_1702:                             ; =>This Inner Loop Header: Depth=1
	s_sethalt 5
	s_branch .LBB2_1702
.LBB2_1703:
	s_trap 2
	s_sendmsg_rtn_b32 s0, sendmsg(MSG_RTN_GET_DOORBELL)
	s_mov_b32 ttmp2, m0
	s_waitcnt lgkmcnt(0)
	s_and_b32 s0, s0, 0x3ff
	s_delay_alu instid0(SALU_CYCLE_1) | instskip(NEXT) | instid1(SALU_CYCLE_1)
	s_bitset1_b32 s0, 10
	s_mov_b32 m0, s0
	s_sendmsg sendmsg(MSG_INTERRUPT)
	s_mov_b32 m0, ttmp2
.LBB2_1704:                             ; =>This Inner Loop Header: Depth=1
	s_sethalt 5
	s_branch .LBB2_1704
.LBB2_1705:
	s_trap 2
	s_sendmsg_rtn_b32 s0, sendmsg(MSG_RTN_GET_DOORBELL)
	s_mov_b32 ttmp2, m0
	s_waitcnt lgkmcnt(0)
	s_and_b32 s0, s0, 0x3ff
	s_delay_alu instid0(SALU_CYCLE_1) | instskip(NEXT) | instid1(SALU_CYCLE_1)
	s_bitset1_b32 s0, 10
	s_mov_b32 m0, s0
	s_sendmsg sendmsg(MSG_INTERRUPT)
	s_mov_b32 m0, ttmp2
.LBB2_1706:                             ; =>This Inner Loop Header: Depth=1
	s_sethalt 5
	s_branch .LBB2_1706
.LBB2_1707:
	s_trap 2
	s_sendmsg_rtn_b32 s0, sendmsg(MSG_RTN_GET_DOORBELL)
	s_mov_b32 ttmp2, m0
	s_waitcnt lgkmcnt(0)
	s_and_b32 s0, s0, 0x3ff
	s_delay_alu instid0(SALU_CYCLE_1) | instskip(NEXT) | instid1(SALU_CYCLE_1)
	s_bitset1_b32 s0, 10
	s_mov_b32 m0, s0
	s_sendmsg sendmsg(MSG_INTERRUPT)
	s_mov_b32 m0, ttmp2
.LBB2_1708:                             ; =>This Inner Loop Header: Depth=1
	s_sethalt 5
	s_branch .LBB2_1708
.LBB2_1709:
	s_trap 2
	s_sendmsg_rtn_b32 s0, sendmsg(MSG_RTN_GET_DOORBELL)
	s_mov_b32 ttmp2, m0
	s_waitcnt lgkmcnt(0)
	s_and_b32 s0, s0, 0x3ff
	s_delay_alu instid0(SALU_CYCLE_1) | instskip(NEXT) | instid1(SALU_CYCLE_1)
	s_bitset1_b32 s0, 10
	s_mov_b32 m0, s0
	s_sendmsg sendmsg(MSG_INTERRUPT)
	s_mov_b32 m0, ttmp2
.LBB2_1710:                             ; =>This Inner Loop Header: Depth=1
	s_sethalt 5
	s_branch .LBB2_1710
.LBB2_1711:
	s_trap 2
	s_sendmsg_rtn_b32 s0, sendmsg(MSG_RTN_GET_DOORBELL)
	s_mov_b32 ttmp2, m0
	s_waitcnt lgkmcnt(0)
	s_and_b32 s0, s0, 0x3ff
	s_delay_alu instid0(SALU_CYCLE_1) | instskip(NEXT) | instid1(SALU_CYCLE_1)
	s_bitset1_b32 s0, 10
	s_mov_b32 m0, s0
	s_sendmsg sendmsg(MSG_INTERRUPT)
	s_mov_b32 m0, ttmp2
.LBB2_1712:                             ; =>This Inner Loop Header: Depth=1
	s_sethalt 5
	s_branch .LBB2_1712
.LBB2_1713:
	s_trap 2
	s_sendmsg_rtn_b32 s0, sendmsg(MSG_RTN_GET_DOORBELL)
	s_mov_b32 ttmp2, m0
	s_waitcnt lgkmcnt(0)
	s_and_b32 s0, s0, 0x3ff
	s_delay_alu instid0(SALU_CYCLE_1) | instskip(NEXT) | instid1(SALU_CYCLE_1)
	s_bitset1_b32 s0, 10
	s_mov_b32 m0, s0
	s_sendmsg sendmsg(MSG_INTERRUPT)
	s_mov_b32 m0, ttmp2
.LBB2_1714:                             ; =>This Inner Loop Header: Depth=1
	s_sethalt 5
	s_branch .LBB2_1714
.LBB2_1715:
	s_trap 2
	s_sendmsg_rtn_b32 s0, sendmsg(MSG_RTN_GET_DOORBELL)
	s_mov_b32 ttmp2, m0
	s_waitcnt lgkmcnt(0)
	s_and_b32 s0, s0, 0x3ff
	s_delay_alu instid0(SALU_CYCLE_1) | instskip(NEXT) | instid1(SALU_CYCLE_1)
	s_bitset1_b32 s0, 10
	s_mov_b32 m0, s0
	s_sendmsg sendmsg(MSG_INTERRUPT)
	s_mov_b32 m0, ttmp2
.LBB2_1716:                             ; =>This Inner Loop Header: Depth=1
	s_sethalt 5
	s_branch .LBB2_1716
.LBB2_1717:
	s_trap 2
	s_sendmsg_rtn_b32 s0, sendmsg(MSG_RTN_GET_DOORBELL)
	s_mov_b32 ttmp2, m0
	s_waitcnt lgkmcnt(0)
	s_and_b32 s0, s0, 0x3ff
	s_delay_alu instid0(SALU_CYCLE_1) | instskip(NEXT) | instid1(SALU_CYCLE_1)
	s_bitset1_b32 s0, 10
	s_mov_b32 m0, s0
	s_sendmsg sendmsg(MSG_INTERRUPT)
	s_mov_b32 m0, ttmp2
.LBB2_1718:                             ; =>This Inner Loop Header: Depth=1
	s_sethalt 5
	s_branch .LBB2_1718
.LBB2_1719:
	s_trap 2
	s_sendmsg_rtn_b32 s0, sendmsg(MSG_RTN_GET_DOORBELL)
	s_mov_b32 ttmp2, m0
	s_waitcnt lgkmcnt(0)
	s_and_b32 s0, s0, 0x3ff
	s_delay_alu instid0(SALU_CYCLE_1) | instskip(NEXT) | instid1(SALU_CYCLE_1)
	s_bitset1_b32 s0, 10
	s_mov_b32 m0, s0
	s_sendmsg sendmsg(MSG_INTERRUPT)
	s_mov_b32 m0, ttmp2
.LBB2_1720:                             ; =>This Inner Loop Header: Depth=1
	s_sethalt 5
	s_branch .LBB2_1720
.LBB2_1721:
	s_trap 2
	s_sendmsg_rtn_b32 s0, sendmsg(MSG_RTN_GET_DOORBELL)
	s_mov_b32 ttmp2, m0
	s_waitcnt lgkmcnt(0)
	s_and_b32 s0, s0, 0x3ff
	s_delay_alu instid0(SALU_CYCLE_1) | instskip(NEXT) | instid1(SALU_CYCLE_1)
	s_bitset1_b32 s0, 10
	s_mov_b32 m0, s0
	s_sendmsg sendmsg(MSG_INTERRUPT)
	s_mov_b32 m0, ttmp2
.LBB2_1722:                             ; =>This Inner Loop Header: Depth=1
	s_sethalt 5
	s_branch .LBB2_1722
.LBB2_1723:
	s_trap 2
	s_sendmsg_rtn_b32 s0, sendmsg(MSG_RTN_GET_DOORBELL)
	s_mov_b32 ttmp2, m0
	s_waitcnt lgkmcnt(0)
	s_and_b32 s0, s0, 0x3ff
	s_delay_alu instid0(SALU_CYCLE_1) | instskip(NEXT) | instid1(SALU_CYCLE_1)
	s_bitset1_b32 s0, 10
	s_mov_b32 m0, s0
	s_sendmsg sendmsg(MSG_INTERRUPT)
	s_mov_b32 m0, ttmp2
.LBB2_1724:                             ; =>This Inner Loop Header: Depth=1
	s_sethalt 5
	s_branch .LBB2_1724
.LBB2_1725:
	s_trap 2
	s_sendmsg_rtn_b32 s0, sendmsg(MSG_RTN_GET_DOORBELL)
	s_mov_b32 ttmp2, m0
	s_waitcnt lgkmcnt(0)
	s_and_b32 s0, s0, 0x3ff
	s_delay_alu instid0(SALU_CYCLE_1) | instskip(NEXT) | instid1(SALU_CYCLE_1)
	s_bitset1_b32 s0, 10
	s_mov_b32 m0, s0
	s_sendmsg sendmsg(MSG_INTERRUPT)
	s_mov_b32 m0, ttmp2
.LBB2_1726:                             ; =>This Inner Loop Header: Depth=1
	s_sethalt 5
	s_branch .LBB2_1726
.LBB2_1727:
	s_trap 2
	s_sendmsg_rtn_b32 s0, sendmsg(MSG_RTN_GET_DOORBELL)
	s_mov_b32 ttmp2, m0
	s_waitcnt lgkmcnt(0)
	s_and_b32 s0, s0, 0x3ff
	s_delay_alu instid0(SALU_CYCLE_1) | instskip(NEXT) | instid1(SALU_CYCLE_1)
	s_bitset1_b32 s0, 10
	s_mov_b32 m0, s0
	s_sendmsg sendmsg(MSG_INTERRUPT)
	s_mov_b32 m0, ttmp2
.LBB2_1728:                             ; =>This Inner Loop Header: Depth=1
	s_sethalt 5
	s_branch .LBB2_1728
.LBB2_1729:
	s_trap 2
	s_sendmsg_rtn_b32 s0, sendmsg(MSG_RTN_GET_DOORBELL)
	s_mov_b32 ttmp2, m0
	s_waitcnt lgkmcnt(0)
	s_and_b32 s0, s0, 0x3ff
	s_delay_alu instid0(SALU_CYCLE_1) | instskip(NEXT) | instid1(SALU_CYCLE_1)
	s_bitset1_b32 s0, 10
	s_mov_b32 m0, s0
	s_sendmsg sendmsg(MSG_INTERRUPT)
	s_mov_b32 m0, ttmp2
.LBB2_1730:                             ; =>This Inner Loop Header: Depth=1
	s_sethalt 5
	s_branch .LBB2_1730
.LBB2_1731:
	s_trap 2
	s_sendmsg_rtn_b32 s0, sendmsg(MSG_RTN_GET_DOORBELL)
	s_mov_b32 ttmp2, m0
	s_waitcnt lgkmcnt(0)
	s_and_b32 s0, s0, 0x3ff
	s_delay_alu instid0(SALU_CYCLE_1) | instskip(NEXT) | instid1(SALU_CYCLE_1)
	s_bitset1_b32 s0, 10
	s_mov_b32 m0, s0
	s_sendmsg sendmsg(MSG_INTERRUPT)
	s_mov_b32 m0, ttmp2
.LBB2_1732:                             ; =>This Inner Loop Header: Depth=1
	s_sethalt 5
	s_branch .LBB2_1732
.LBB2_1733:
	s_trap 2
	s_sendmsg_rtn_b32 s0, sendmsg(MSG_RTN_GET_DOORBELL)
	s_mov_b32 ttmp2, m0
	s_waitcnt lgkmcnt(0)
	s_and_b32 s0, s0, 0x3ff
	s_delay_alu instid0(SALU_CYCLE_1) | instskip(NEXT) | instid1(SALU_CYCLE_1)
	s_bitset1_b32 s0, 10
	s_mov_b32 m0, s0
	s_sendmsg sendmsg(MSG_INTERRUPT)
	s_mov_b32 m0, ttmp2
.LBB2_1734:                             ; =>This Inner Loop Header: Depth=1
	s_sethalt 5
	s_branch .LBB2_1734
.LBB2_1735:
	s_trap 2
	s_sendmsg_rtn_b32 s0, sendmsg(MSG_RTN_GET_DOORBELL)
	s_mov_b32 ttmp2, m0
	s_waitcnt lgkmcnt(0)
	s_and_b32 s0, s0, 0x3ff
	s_delay_alu instid0(SALU_CYCLE_1) | instskip(NEXT) | instid1(SALU_CYCLE_1)
	s_bitset1_b32 s0, 10
	s_mov_b32 m0, s0
	s_sendmsg sendmsg(MSG_INTERRUPT)
	s_mov_b32 m0, ttmp2
.LBB2_1736:                             ; =>This Inner Loop Header: Depth=1
	s_sethalt 5
	s_branch .LBB2_1736
.LBB2_1737:
	s_trap 2
	s_sendmsg_rtn_b32 s0, sendmsg(MSG_RTN_GET_DOORBELL)
	s_mov_b32 ttmp2, m0
	s_waitcnt lgkmcnt(0)
	s_and_b32 s0, s0, 0x3ff
	s_delay_alu instid0(SALU_CYCLE_1) | instskip(NEXT) | instid1(SALU_CYCLE_1)
	s_bitset1_b32 s0, 10
	s_mov_b32 m0, s0
	s_sendmsg sendmsg(MSG_INTERRUPT)
	s_mov_b32 m0, ttmp2
.LBB2_1738:                             ; =>This Inner Loop Header: Depth=1
	s_sethalt 5
	s_branch .LBB2_1738
.LBB2_1739:
	s_trap 2
	s_sendmsg_rtn_b32 s0, sendmsg(MSG_RTN_GET_DOORBELL)
	s_mov_b32 ttmp2, m0
	s_waitcnt lgkmcnt(0)
	s_and_b32 s0, s0, 0x3ff
	s_delay_alu instid0(SALU_CYCLE_1) | instskip(NEXT) | instid1(SALU_CYCLE_1)
	s_bitset1_b32 s0, 10
	s_mov_b32 m0, s0
	s_sendmsg sendmsg(MSG_INTERRUPT)
	s_mov_b32 m0, ttmp2
.LBB2_1740:                             ; =>This Inner Loop Header: Depth=1
	s_sethalt 5
	s_branch .LBB2_1740
.LBB2_1741:
	s_trap 2
	s_sendmsg_rtn_b32 s0, sendmsg(MSG_RTN_GET_DOORBELL)
	s_mov_b32 ttmp2, m0
	s_waitcnt lgkmcnt(0)
	s_and_b32 s0, s0, 0x3ff
	s_delay_alu instid0(SALU_CYCLE_1) | instskip(NEXT) | instid1(SALU_CYCLE_1)
	s_bitset1_b32 s0, 10
	s_mov_b32 m0, s0
	s_sendmsg sendmsg(MSG_INTERRUPT)
	s_mov_b32 m0, ttmp2
.LBB2_1742:                             ; =>This Inner Loop Header: Depth=1
	s_sethalt 5
	s_branch .LBB2_1742
.LBB2_1743:
	s_trap 2
	s_sendmsg_rtn_b32 s0, sendmsg(MSG_RTN_GET_DOORBELL)
	s_mov_b32 ttmp2, m0
	s_waitcnt lgkmcnt(0)
	s_and_b32 s0, s0, 0x3ff
	s_delay_alu instid0(SALU_CYCLE_1) | instskip(NEXT) | instid1(SALU_CYCLE_1)
	s_bitset1_b32 s0, 10
	s_mov_b32 m0, s0
	s_sendmsg sendmsg(MSG_INTERRUPT)
	s_mov_b32 m0, ttmp2
.LBB2_1744:                             ; =>This Inner Loop Header: Depth=1
	s_sethalt 5
	s_branch .LBB2_1744
.LBB2_1745:
	s_trap 2
	s_sendmsg_rtn_b32 s0, sendmsg(MSG_RTN_GET_DOORBELL)
	s_mov_b32 ttmp2, m0
	s_waitcnt lgkmcnt(0)
	s_and_b32 s0, s0, 0x3ff
	s_delay_alu instid0(SALU_CYCLE_1) | instskip(NEXT) | instid1(SALU_CYCLE_1)
	s_bitset1_b32 s0, 10
	s_mov_b32 m0, s0
	s_sendmsg sendmsg(MSG_INTERRUPT)
	s_mov_b32 m0, ttmp2
.LBB2_1746:                             ; =>This Inner Loop Header: Depth=1
	s_sethalt 5
	s_branch .LBB2_1746
.LBB2_1747:
	s_trap 2
	s_sendmsg_rtn_b32 s0, sendmsg(MSG_RTN_GET_DOORBELL)
	s_mov_b32 ttmp2, m0
	s_waitcnt lgkmcnt(0)
	s_and_b32 s0, s0, 0x3ff
	s_delay_alu instid0(SALU_CYCLE_1) | instskip(NEXT) | instid1(SALU_CYCLE_1)
	s_bitset1_b32 s0, 10
	s_mov_b32 m0, s0
	s_sendmsg sendmsg(MSG_INTERRUPT)
	s_mov_b32 m0, ttmp2
.LBB2_1748:                             ; =>This Inner Loop Header: Depth=1
	s_sethalt 5
	s_branch .LBB2_1748
.LBB2_1749:
	s_trap 2
	s_sendmsg_rtn_b32 s0, sendmsg(MSG_RTN_GET_DOORBELL)
	s_mov_b32 ttmp2, m0
	s_waitcnt lgkmcnt(0)
	s_and_b32 s0, s0, 0x3ff
	s_delay_alu instid0(SALU_CYCLE_1) | instskip(NEXT) | instid1(SALU_CYCLE_1)
	s_bitset1_b32 s0, 10
	s_mov_b32 m0, s0
	s_sendmsg sendmsg(MSG_INTERRUPT)
	s_mov_b32 m0, ttmp2
.LBB2_1750:                             ; =>This Inner Loop Header: Depth=1
	s_sethalt 5
	s_branch .LBB2_1750
.LBB2_1751:
	s_trap 2
	s_sendmsg_rtn_b32 s0, sendmsg(MSG_RTN_GET_DOORBELL)
	s_mov_b32 ttmp2, m0
	s_waitcnt lgkmcnt(0)
	s_and_b32 s0, s0, 0x3ff
	s_delay_alu instid0(SALU_CYCLE_1) | instskip(NEXT) | instid1(SALU_CYCLE_1)
	s_bitset1_b32 s0, 10
	s_mov_b32 m0, s0
	s_sendmsg sendmsg(MSG_INTERRUPT)
	s_mov_b32 m0, ttmp2
.LBB2_1752:                             ; =>This Inner Loop Header: Depth=1
	s_sethalt 5
	s_branch .LBB2_1752
.LBB2_1753:
	s_trap 2
	s_sendmsg_rtn_b32 s0, sendmsg(MSG_RTN_GET_DOORBELL)
	s_mov_b32 ttmp2, m0
	s_waitcnt lgkmcnt(0)
	s_and_b32 s0, s0, 0x3ff
	s_delay_alu instid0(SALU_CYCLE_1) | instskip(NEXT) | instid1(SALU_CYCLE_1)
	s_bitset1_b32 s0, 10
	s_mov_b32 m0, s0
	s_sendmsg sendmsg(MSG_INTERRUPT)
	s_mov_b32 m0, ttmp2
.LBB2_1754:                             ; =>This Inner Loop Header: Depth=1
	s_sethalt 5
	s_branch .LBB2_1754
.LBB2_1755:
	s_trap 2
	s_sendmsg_rtn_b32 s0, sendmsg(MSG_RTN_GET_DOORBELL)
	s_mov_b32 ttmp2, m0
	s_waitcnt lgkmcnt(0)
	s_and_b32 s0, s0, 0x3ff
	s_delay_alu instid0(SALU_CYCLE_1) | instskip(NEXT) | instid1(SALU_CYCLE_1)
	s_bitset1_b32 s0, 10
	s_mov_b32 m0, s0
	s_sendmsg sendmsg(MSG_INTERRUPT)
	s_mov_b32 m0, ttmp2
.LBB2_1756:                             ; =>This Inner Loop Header: Depth=1
	s_sethalt 5
	s_branch .LBB2_1756
.LBB2_1757:
	s_trap 2
	s_sendmsg_rtn_b32 s0, sendmsg(MSG_RTN_GET_DOORBELL)
	s_mov_b32 ttmp2, m0
	s_waitcnt lgkmcnt(0)
	s_and_b32 s0, s0, 0x3ff
	s_delay_alu instid0(SALU_CYCLE_1) | instskip(NEXT) | instid1(SALU_CYCLE_1)
	s_bitset1_b32 s0, 10
	s_mov_b32 m0, s0
	s_sendmsg sendmsg(MSG_INTERRUPT)
	s_mov_b32 m0, ttmp2
.LBB2_1758:                             ; =>This Inner Loop Header: Depth=1
	s_sethalt 5
	s_branch .LBB2_1758
.LBB2_1759:
	s_trap 2
	s_sendmsg_rtn_b32 s0, sendmsg(MSG_RTN_GET_DOORBELL)
	s_mov_b32 ttmp2, m0
	s_waitcnt lgkmcnt(0)
	s_and_b32 s0, s0, 0x3ff
	s_delay_alu instid0(SALU_CYCLE_1) | instskip(NEXT) | instid1(SALU_CYCLE_1)
	s_bitset1_b32 s0, 10
	s_mov_b32 m0, s0
	s_sendmsg sendmsg(MSG_INTERRUPT)
	s_mov_b32 m0, ttmp2
.LBB2_1760:                             ; =>This Inner Loop Header: Depth=1
	s_sethalt 5
	s_branch .LBB2_1760
.LBB2_1761:
	s_trap 2
	s_sendmsg_rtn_b32 s0, sendmsg(MSG_RTN_GET_DOORBELL)
	s_mov_b32 ttmp2, m0
	s_waitcnt lgkmcnt(0)
	s_and_b32 s0, s0, 0x3ff
	s_delay_alu instid0(SALU_CYCLE_1) | instskip(NEXT) | instid1(SALU_CYCLE_1)
	s_bitset1_b32 s0, 10
	s_mov_b32 m0, s0
	s_sendmsg sendmsg(MSG_INTERRUPT)
	s_mov_b32 m0, ttmp2
.LBB2_1762:                             ; =>This Inner Loop Header: Depth=1
	s_sethalt 5
	s_branch .LBB2_1762
.LBB2_1763:
	s_trap 2
	s_sendmsg_rtn_b32 s0, sendmsg(MSG_RTN_GET_DOORBELL)
	s_mov_b32 ttmp2, m0
	s_waitcnt lgkmcnt(0)
	s_and_b32 s0, s0, 0x3ff
	s_delay_alu instid0(SALU_CYCLE_1) | instskip(NEXT) | instid1(SALU_CYCLE_1)
	s_bitset1_b32 s0, 10
	s_mov_b32 m0, s0
	s_sendmsg sendmsg(MSG_INTERRUPT)
	s_mov_b32 m0, ttmp2
.LBB2_1764:                             ; =>This Inner Loop Header: Depth=1
	s_sethalt 5
	s_branch .LBB2_1764
.LBB2_1765:
	s_trap 2
	s_sendmsg_rtn_b32 s0, sendmsg(MSG_RTN_GET_DOORBELL)
	s_mov_b32 ttmp2, m0
	s_waitcnt lgkmcnt(0)
	s_and_b32 s0, s0, 0x3ff
	s_delay_alu instid0(SALU_CYCLE_1) | instskip(NEXT) | instid1(SALU_CYCLE_1)
	s_bitset1_b32 s0, 10
	s_mov_b32 m0, s0
	s_sendmsg sendmsg(MSG_INTERRUPT)
	s_mov_b32 m0, ttmp2
.LBB2_1766:                             ; =>This Inner Loop Header: Depth=1
	s_sethalt 5
	s_branch .LBB2_1766
.LBB2_1767:
	s_trap 2
	s_sendmsg_rtn_b32 s0, sendmsg(MSG_RTN_GET_DOORBELL)
	s_mov_b32 ttmp2, m0
	s_waitcnt lgkmcnt(0)
	s_and_b32 s0, s0, 0x3ff
	s_delay_alu instid0(SALU_CYCLE_1) | instskip(NEXT) | instid1(SALU_CYCLE_1)
	s_bitset1_b32 s0, 10
	s_mov_b32 m0, s0
	s_sendmsg sendmsg(MSG_INTERRUPT)
	s_mov_b32 m0, ttmp2
.LBB2_1768:                             ; =>This Inner Loop Header: Depth=1
	s_sethalt 5
	s_branch .LBB2_1768
.LBB2_1769:
	s_trap 2
	s_sendmsg_rtn_b32 s0, sendmsg(MSG_RTN_GET_DOORBELL)
	s_mov_b32 ttmp2, m0
	s_waitcnt lgkmcnt(0)
	s_and_b32 s0, s0, 0x3ff
	s_delay_alu instid0(SALU_CYCLE_1) | instskip(NEXT) | instid1(SALU_CYCLE_1)
	s_bitset1_b32 s0, 10
	s_mov_b32 m0, s0
	s_sendmsg sendmsg(MSG_INTERRUPT)
	s_mov_b32 m0, ttmp2
.LBB2_1770:                             ; =>This Inner Loop Header: Depth=1
	s_sethalt 5
	s_branch .LBB2_1770
.LBB2_1771:
	s_trap 2
	s_sendmsg_rtn_b32 s0, sendmsg(MSG_RTN_GET_DOORBELL)
	s_mov_b32 ttmp2, m0
	s_waitcnt lgkmcnt(0)
	s_and_b32 s0, s0, 0x3ff
	s_delay_alu instid0(SALU_CYCLE_1) | instskip(NEXT) | instid1(SALU_CYCLE_1)
	s_bitset1_b32 s0, 10
	s_mov_b32 m0, s0
	s_sendmsg sendmsg(MSG_INTERRUPT)
	s_mov_b32 m0, ttmp2
.LBB2_1772:                             ; =>This Inner Loop Header: Depth=1
	s_sethalt 5
	s_branch .LBB2_1772
.LBB2_1773:
	s_trap 2
	s_sendmsg_rtn_b32 s0, sendmsg(MSG_RTN_GET_DOORBELL)
	s_mov_b32 ttmp2, m0
	s_waitcnt lgkmcnt(0)
	s_and_b32 s0, s0, 0x3ff
	s_delay_alu instid0(SALU_CYCLE_1) | instskip(NEXT) | instid1(SALU_CYCLE_1)
	s_bitset1_b32 s0, 10
	s_mov_b32 m0, s0
	s_sendmsg sendmsg(MSG_INTERRUPT)
	s_mov_b32 m0, ttmp2
.LBB2_1774:                             ; =>This Inner Loop Header: Depth=1
	s_sethalt 5
	s_branch .LBB2_1774
.LBB2_1775:
	s_trap 2
	s_sendmsg_rtn_b32 s0, sendmsg(MSG_RTN_GET_DOORBELL)
	s_mov_b32 ttmp2, m0
	s_waitcnt lgkmcnt(0)
	s_and_b32 s0, s0, 0x3ff
	s_delay_alu instid0(SALU_CYCLE_1) | instskip(NEXT) | instid1(SALU_CYCLE_1)
	s_bitset1_b32 s0, 10
	s_mov_b32 m0, s0
	s_sendmsg sendmsg(MSG_INTERRUPT)
	s_mov_b32 m0, ttmp2
.LBB2_1776:                             ; =>This Inner Loop Header: Depth=1
	s_sethalt 5
	s_branch .LBB2_1776
.LBB2_1777:
	s_trap 2
	s_sendmsg_rtn_b32 s0, sendmsg(MSG_RTN_GET_DOORBELL)
	s_mov_b32 ttmp2, m0
	s_waitcnt lgkmcnt(0)
	s_and_b32 s0, s0, 0x3ff
	s_delay_alu instid0(SALU_CYCLE_1) | instskip(NEXT) | instid1(SALU_CYCLE_1)
	s_bitset1_b32 s0, 10
	s_mov_b32 m0, s0
	s_sendmsg sendmsg(MSG_INTERRUPT)
	s_mov_b32 m0, ttmp2
.LBB2_1778:                             ; =>This Inner Loop Header: Depth=1
	s_sethalt 5
	s_branch .LBB2_1778
.LBB2_1779:
	s_trap 2
	s_sendmsg_rtn_b32 s0, sendmsg(MSG_RTN_GET_DOORBELL)
	s_mov_b32 ttmp2, m0
	s_waitcnt lgkmcnt(0)
	s_and_b32 s0, s0, 0x3ff
	s_delay_alu instid0(SALU_CYCLE_1) | instskip(NEXT) | instid1(SALU_CYCLE_1)
	s_bitset1_b32 s0, 10
	s_mov_b32 m0, s0
	s_sendmsg sendmsg(MSG_INTERRUPT)
	s_mov_b32 m0, ttmp2
.LBB2_1780:                             ; =>This Inner Loop Header: Depth=1
	s_sethalt 5
	s_branch .LBB2_1780
.LBB2_1781:
	s_trap 2
	s_sendmsg_rtn_b32 s0, sendmsg(MSG_RTN_GET_DOORBELL)
	s_mov_b32 ttmp2, m0
	s_waitcnt lgkmcnt(0)
	s_and_b32 s0, s0, 0x3ff
	s_delay_alu instid0(SALU_CYCLE_1) | instskip(NEXT) | instid1(SALU_CYCLE_1)
	s_bitset1_b32 s0, 10
	s_mov_b32 m0, s0
	s_sendmsg sendmsg(MSG_INTERRUPT)
	s_mov_b32 m0, ttmp2
.LBB2_1782:                             ; =>This Inner Loop Header: Depth=1
	s_sethalt 5
	s_branch .LBB2_1782
.LBB2_1783:
	s_trap 2
	s_sendmsg_rtn_b32 s0, sendmsg(MSG_RTN_GET_DOORBELL)
	s_mov_b32 ttmp2, m0
	s_waitcnt lgkmcnt(0)
	s_and_b32 s0, s0, 0x3ff
	s_delay_alu instid0(SALU_CYCLE_1) | instskip(NEXT) | instid1(SALU_CYCLE_1)
	s_bitset1_b32 s0, 10
	s_mov_b32 m0, s0
	s_sendmsg sendmsg(MSG_INTERRUPT)
	s_mov_b32 m0, ttmp2
.LBB2_1784:                             ; =>This Inner Loop Header: Depth=1
	s_sethalt 5
	s_branch .LBB2_1784
.LBB2_1785:
	s_trap 2
	s_sendmsg_rtn_b32 s0, sendmsg(MSG_RTN_GET_DOORBELL)
	s_mov_b32 ttmp2, m0
	s_waitcnt lgkmcnt(0)
	s_and_b32 s0, s0, 0x3ff
	s_delay_alu instid0(SALU_CYCLE_1) | instskip(NEXT) | instid1(SALU_CYCLE_1)
	s_bitset1_b32 s0, 10
	s_mov_b32 m0, s0
	s_sendmsg sendmsg(MSG_INTERRUPT)
	s_mov_b32 m0, ttmp2
.LBB2_1786:                             ; =>This Inner Loop Header: Depth=1
	s_sethalt 5
	s_branch .LBB2_1786
.LBB2_1787:
	s_trap 2
	s_sendmsg_rtn_b32 s0, sendmsg(MSG_RTN_GET_DOORBELL)
	s_mov_b32 ttmp2, m0
	s_waitcnt lgkmcnt(0)
	s_and_b32 s0, s0, 0x3ff
	s_delay_alu instid0(SALU_CYCLE_1) | instskip(NEXT) | instid1(SALU_CYCLE_1)
	s_bitset1_b32 s0, 10
	s_mov_b32 m0, s0
	s_sendmsg sendmsg(MSG_INTERRUPT)
	s_mov_b32 m0, ttmp2
.LBB2_1788:                             ; =>This Inner Loop Header: Depth=1
	s_sethalt 5
	s_branch .LBB2_1788
.LBB2_1789:
	s_trap 2
	s_sendmsg_rtn_b32 s0, sendmsg(MSG_RTN_GET_DOORBELL)
	s_mov_b32 ttmp2, m0
	s_waitcnt lgkmcnt(0)
	s_and_b32 s0, s0, 0x3ff
	s_delay_alu instid0(SALU_CYCLE_1) | instskip(NEXT) | instid1(SALU_CYCLE_1)
	s_bitset1_b32 s0, 10
	s_mov_b32 m0, s0
	s_sendmsg sendmsg(MSG_INTERRUPT)
	s_mov_b32 m0, ttmp2
.LBB2_1790:                             ; =>This Inner Loop Header: Depth=1
	s_sethalt 5
	s_branch .LBB2_1790
.LBB2_1791:
	s_trap 2
	s_sendmsg_rtn_b32 s0, sendmsg(MSG_RTN_GET_DOORBELL)
	s_mov_b32 ttmp2, m0
	s_waitcnt lgkmcnt(0)
	s_and_b32 s0, s0, 0x3ff
	s_delay_alu instid0(SALU_CYCLE_1) | instskip(NEXT) | instid1(SALU_CYCLE_1)
	s_bitset1_b32 s0, 10
	s_mov_b32 m0, s0
	s_sendmsg sendmsg(MSG_INTERRUPT)
	s_mov_b32 m0, ttmp2
.LBB2_1792:                             ; =>This Inner Loop Header: Depth=1
	s_sethalt 5
	s_branch .LBB2_1792
.LBB2_1793:
	s_trap 2
	s_sendmsg_rtn_b32 s0, sendmsg(MSG_RTN_GET_DOORBELL)
	s_mov_b32 ttmp2, m0
	s_waitcnt lgkmcnt(0)
	s_and_b32 s0, s0, 0x3ff
	s_delay_alu instid0(SALU_CYCLE_1) | instskip(NEXT) | instid1(SALU_CYCLE_1)
	s_bitset1_b32 s0, 10
	s_mov_b32 m0, s0
	s_sendmsg sendmsg(MSG_INTERRUPT)
	s_mov_b32 m0, ttmp2
.LBB2_1794:                             ; =>This Inner Loop Header: Depth=1
	s_sethalt 5
	s_branch .LBB2_1794
.LBB2_1795:
	s_trap 2
	s_sendmsg_rtn_b32 s0, sendmsg(MSG_RTN_GET_DOORBELL)
	s_mov_b32 ttmp2, m0
	s_waitcnt lgkmcnt(0)
	s_and_b32 s0, s0, 0x3ff
	s_delay_alu instid0(SALU_CYCLE_1) | instskip(NEXT) | instid1(SALU_CYCLE_1)
	s_bitset1_b32 s0, 10
	s_mov_b32 m0, s0
	s_sendmsg sendmsg(MSG_INTERRUPT)
	s_mov_b32 m0, ttmp2
.LBB2_1796:                             ; =>This Inner Loop Header: Depth=1
	s_sethalt 5
	s_branch .LBB2_1796
.LBB2_1797:
	s_trap 2
	s_sendmsg_rtn_b32 s0, sendmsg(MSG_RTN_GET_DOORBELL)
	s_mov_b32 ttmp2, m0
	s_waitcnt lgkmcnt(0)
	s_and_b32 s0, s0, 0x3ff
	s_delay_alu instid0(SALU_CYCLE_1) | instskip(NEXT) | instid1(SALU_CYCLE_1)
	s_bitset1_b32 s0, 10
	s_mov_b32 m0, s0
	s_sendmsg sendmsg(MSG_INTERRUPT)
	s_mov_b32 m0, ttmp2
.LBB2_1798:                             ; =>This Inner Loop Header: Depth=1
	s_sethalt 5
	s_branch .LBB2_1798
.LBB2_1799:
	s_trap 2
	s_sendmsg_rtn_b32 s0, sendmsg(MSG_RTN_GET_DOORBELL)
	s_mov_b32 ttmp2, m0
	s_waitcnt lgkmcnt(0)
	s_and_b32 s0, s0, 0x3ff
	s_delay_alu instid0(SALU_CYCLE_1) | instskip(NEXT) | instid1(SALU_CYCLE_1)
	s_bitset1_b32 s0, 10
	s_mov_b32 m0, s0
	s_sendmsg sendmsg(MSG_INTERRUPT)
	s_mov_b32 m0, ttmp2
.LBB2_1800:                             ; =>This Inner Loop Header: Depth=1
	s_sethalt 5
	s_branch .LBB2_1800
.LBB2_1801:
	s_trap 2
	s_sendmsg_rtn_b32 s0, sendmsg(MSG_RTN_GET_DOORBELL)
	s_mov_b32 ttmp2, m0
	s_waitcnt lgkmcnt(0)
	s_and_b32 s0, s0, 0x3ff
	s_delay_alu instid0(SALU_CYCLE_1) | instskip(NEXT) | instid1(SALU_CYCLE_1)
	s_bitset1_b32 s0, 10
	s_mov_b32 m0, s0
	s_sendmsg sendmsg(MSG_INTERRUPT)
	s_mov_b32 m0, ttmp2
.LBB2_1802:                             ; =>This Inner Loop Header: Depth=1
	s_sethalt 5
	s_branch .LBB2_1802
.LBB2_1803:
	s_trap 2
	s_sendmsg_rtn_b32 s0, sendmsg(MSG_RTN_GET_DOORBELL)
	s_mov_b32 ttmp2, m0
	s_waitcnt lgkmcnt(0)
	s_and_b32 s0, s0, 0x3ff
	s_delay_alu instid0(SALU_CYCLE_1) | instskip(NEXT) | instid1(SALU_CYCLE_1)
	s_bitset1_b32 s0, 10
	s_mov_b32 m0, s0
	s_sendmsg sendmsg(MSG_INTERRUPT)
	s_mov_b32 m0, ttmp2
.LBB2_1804:                             ; =>This Inner Loop Header: Depth=1
	s_sethalt 5
	s_branch .LBB2_1804
.LBB2_1805:
	s_trap 2
	s_sendmsg_rtn_b32 s0, sendmsg(MSG_RTN_GET_DOORBELL)
	s_mov_b32 ttmp2, m0
	s_waitcnt lgkmcnt(0)
	s_and_b32 s0, s0, 0x3ff
	s_delay_alu instid0(SALU_CYCLE_1) | instskip(NEXT) | instid1(SALU_CYCLE_1)
	s_bitset1_b32 s0, 10
	s_mov_b32 m0, s0
	s_sendmsg sendmsg(MSG_INTERRUPT)
	s_mov_b32 m0, ttmp2
.LBB2_1806:                             ; =>This Inner Loop Header: Depth=1
	s_sethalt 5
	s_branch .LBB2_1806
.LBB2_1807:
	s_trap 2
	s_sendmsg_rtn_b32 s0, sendmsg(MSG_RTN_GET_DOORBELL)
	s_mov_b32 ttmp2, m0
	s_waitcnt lgkmcnt(0)
	s_and_b32 s0, s0, 0x3ff
	s_delay_alu instid0(SALU_CYCLE_1) | instskip(NEXT) | instid1(SALU_CYCLE_1)
	s_bitset1_b32 s0, 10
	s_mov_b32 m0, s0
	s_sendmsg sendmsg(MSG_INTERRUPT)
	s_mov_b32 m0, ttmp2
.LBB2_1808:                             ; =>This Inner Loop Header: Depth=1
	s_sethalt 5
	s_branch .LBB2_1808
.LBB2_1809:
	s_trap 2
	s_sendmsg_rtn_b32 s0, sendmsg(MSG_RTN_GET_DOORBELL)
	s_mov_b32 ttmp2, m0
	s_waitcnt lgkmcnt(0)
	s_and_b32 s0, s0, 0x3ff
	s_delay_alu instid0(SALU_CYCLE_1) | instskip(NEXT) | instid1(SALU_CYCLE_1)
	s_bitset1_b32 s0, 10
	s_mov_b32 m0, s0
	s_sendmsg sendmsg(MSG_INTERRUPT)
	s_mov_b32 m0, ttmp2
.LBB2_1810:                             ; =>This Inner Loop Header: Depth=1
	s_sethalt 5
	s_branch .LBB2_1810
.LBB2_1811:
	s_trap 2
	s_sendmsg_rtn_b32 s0, sendmsg(MSG_RTN_GET_DOORBELL)
	s_mov_b32 ttmp2, m0
	s_waitcnt lgkmcnt(0)
	s_and_b32 s0, s0, 0x3ff
	s_delay_alu instid0(SALU_CYCLE_1) | instskip(NEXT) | instid1(SALU_CYCLE_1)
	s_bitset1_b32 s0, 10
	s_mov_b32 m0, s0
	s_sendmsg sendmsg(MSG_INTERRUPT)
	s_mov_b32 m0, ttmp2
.LBB2_1812:                             ; =>This Inner Loop Header: Depth=1
	s_sethalt 5
	s_branch .LBB2_1812
.LBB2_1813:
	s_trap 2
	s_sendmsg_rtn_b32 s0, sendmsg(MSG_RTN_GET_DOORBELL)
	s_mov_b32 ttmp2, m0
	s_waitcnt lgkmcnt(0)
	s_and_b32 s0, s0, 0x3ff
	s_delay_alu instid0(SALU_CYCLE_1) | instskip(NEXT) | instid1(SALU_CYCLE_1)
	s_bitset1_b32 s0, 10
	s_mov_b32 m0, s0
	s_sendmsg sendmsg(MSG_INTERRUPT)
	s_mov_b32 m0, ttmp2
.LBB2_1814:                             ; =>This Inner Loop Header: Depth=1
	s_sethalt 5
	s_branch .LBB2_1814
.LBB2_1815:
	s_trap 2
	s_sendmsg_rtn_b32 s0, sendmsg(MSG_RTN_GET_DOORBELL)
	s_mov_b32 ttmp2, m0
	s_waitcnt lgkmcnt(0)
	s_and_b32 s0, s0, 0x3ff
	s_delay_alu instid0(SALU_CYCLE_1) | instskip(NEXT) | instid1(SALU_CYCLE_1)
	s_bitset1_b32 s0, 10
	s_mov_b32 m0, s0
	s_sendmsg sendmsg(MSG_INTERRUPT)
	s_mov_b32 m0, ttmp2
.LBB2_1816:                             ; =>This Inner Loop Header: Depth=1
	s_sethalt 5
	s_branch .LBB2_1816
.LBB2_1817:
	s_trap 2
	s_sendmsg_rtn_b32 s0, sendmsg(MSG_RTN_GET_DOORBELL)
	s_mov_b32 ttmp2, m0
	s_waitcnt lgkmcnt(0)
	s_and_b32 s0, s0, 0x3ff
	s_delay_alu instid0(SALU_CYCLE_1) | instskip(NEXT) | instid1(SALU_CYCLE_1)
	s_bitset1_b32 s0, 10
	s_mov_b32 m0, s0
	s_sendmsg sendmsg(MSG_INTERRUPT)
	s_mov_b32 m0, ttmp2
.LBB2_1818:                             ; =>This Inner Loop Header: Depth=1
	s_sethalt 5
	s_branch .LBB2_1818
.LBB2_1819:
	s_trap 2
	s_sendmsg_rtn_b32 s0, sendmsg(MSG_RTN_GET_DOORBELL)
	s_mov_b32 ttmp2, m0
	s_waitcnt lgkmcnt(0)
	s_and_b32 s0, s0, 0x3ff
	s_delay_alu instid0(SALU_CYCLE_1) | instskip(NEXT) | instid1(SALU_CYCLE_1)
	s_bitset1_b32 s0, 10
	s_mov_b32 m0, s0
	s_sendmsg sendmsg(MSG_INTERRUPT)
	s_mov_b32 m0, ttmp2
.LBB2_1820:                             ; =>This Inner Loop Header: Depth=1
	s_sethalt 5
	s_branch .LBB2_1820
.LBB2_1821:
	s_trap 2
	s_sendmsg_rtn_b32 s0, sendmsg(MSG_RTN_GET_DOORBELL)
	s_mov_b32 ttmp2, m0
	s_waitcnt lgkmcnt(0)
	s_and_b32 s0, s0, 0x3ff
	s_delay_alu instid0(SALU_CYCLE_1) | instskip(NEXT) | instid1(SALU_CYCLE_1)
	s_bitset1_b32 s0, 10
	s_mov_b32 m0, s0
	s_sendmsg sendmsg(MSG_INTERRUPT)
	s_mov_b32 m0, ttmp2
.LBB2_1822:                             ; =>This Inner Loop Header: Depth=1
	s_sethalt 5
	s_branch .LBB2_1822
.LBB2_1823:
	s_trap 2
	s_sendmsg_rtn_b32 s0, sendmsg(MSG_RTN_GET_DOORBELL)
	s_mov_b32 ttmp2, m0
	s_waitcnt lgkmcnt(0)
	s_and_b32 s0, s0, 0x3ff
	s_delay_alu instid0(SALU_CYCLE_1) | instskip(NEXT) | instid1(SALU_CYCLE_1)
	s_bitset1_b32 s0, 10
	s_mov_b32 m0, s0
	s_sendmsg sendmsg(MSG_INTERRUPT)
	s_mov_b32 m0, ttmp2
.LBB2_1824:                             ; =>This Inner Loop Header: Depth=1
	s_sethalt 5
	s_branch .LBB2_1824
.LBB2_1825:
	s_trap 2
	s_sendmsg_rtn_b32 s0, sendmsg(MSG_RTN_GET_DOORBELL)
	s_mov_b32 ttmp2, m0
	s_waitcnt lgkmcnt(0)
	s_and_b32 s0, s0, 0x3ff
	s_delay_alu instid0(SALU_CYCLE_1) | instskip(NEXT) | instid1(SALU_CYCLE_1)
	s_bitset1_b32 s0, 10
	s_mov_b32 m0, s0
	s_sendmsg sendmsg(MSG_INTERRUPT)
	s_mov_b32 m0, ttmp2
.LBB2_1826:                             ; =>This Inner Loop Header: Depth=1
	s_sethalt 5
	s_branch .LBB2_1826
.LBB2_1827:
	s_trap 2
	s_sendmsg_rtn_b32 s0, sendmsg(MSG_RTN_GET_DOORBELL)
	s_mov_b32 ttmp2, m0
	s_waitcnt lgkmcnt(0)
	s_and_b32 s0, s0, 0x3ff
	s_delay_alu instid0(SALU_CYCLE_1) | instskip(NEXT) | instid1(SALU_CYCLE_1)
	s_bitset1_b32 s0, 10
	s_mov_b32 m0, s0
	s_sendmsg sendmsg(MSG_INTERRUPT)
	s_mov_b32 m0, ttmp2
.LBB2_1828:                             ; =>This Inner Loop Header: Depth=1
	s_sethalt 5
	s_branch .LBB2_1828
.LBB2_1829:
	s_trap 2
	s_sendmsg_rtn_b32 s0, sendmsg(MSG_RTN_GET_DOORBELL)
	s_mov_b32 ttmp2, m0
	s_waitcnt lgkmcnt(0)
	s_and_b32 s0, s0, 0x3ff
	s_delay_alu instid0(SALU_CYCLE_1) | instskip(NEXT) | instid1(SALU_CYCLE_1)
	s_bitset1_b32 s0, 10
	s_mov_b32 m0, s0
	s_sendmsg sendmsg(MSG_INTERRUPT)
	s_mov_b32 m0, ttmp2
.LBB2_1830:                             ; =>This Inner Loop Header: Depth=1
	s_sethalt 5
	s_branch .LBB2_1830
.LBB2_1831:
	s_trap 2
	s_sendmsg_rtn_b32 s0, sendmsg(MSG_RTN_GET_DOORBELL)
	s_mov_b32 ttmp2, m0
	s_waitcnt lgkmcnt(0)
	s_and_b32 s0, s0, 0x3ff
	s_delay_alu instid0(SALU_CYCLE_1) | instskip(NEXT) | instid1(SALU_CYCLE_1)
	s_bitset1_b32 s0, 10
	s_mov_b32 m0, s0
	s_sendmsg sendmsg(MSG_INTERRUPT)
	s_mov_b32 m0, ttmp2
.LBB2_1832:                             ; =>This Inner Loop Header: Depth=1
	s_sethalt 5
	s_branch .LBB2_1832
.LBB2_1833:
	s_trap 2
	s_sendmsg_rtn_b32 s0, sendmsg(MSG_RTN_GET_DOORBELL)
	s_mov_b32 ttmp2, m0
	s_waitcnt lgkmcnt(0)
	s_and_b32 s0, s0, 0x3ff
	s_delay_alu instid0(SALU_CYCLE_1) | instskip(NEXT) | instid1(SALU_CYCLE_1)
	s_bitset1_b32 s0, 10
	s_mov_b32 m0, s0
	s_sendmsg sendmsg(MSG_INTERRUPT)
	s_mov_b32 m0, ttmp2
.LBB2_1834:                             ; =>This Inner Loop Header: Depth=1
	s_sethalt 5
	s_branch .LBB2_1834
.LBB2_1835:
	s_trap 2
	s_sendmsg_rtn_b32 s0, sendmsg(MSG_RTN_GET_DOORBELL)
	s_mov_b32 ttmp2, m0
	s_waitcnt lgkmcnt(0)
	s_and_b32 s0, s0, 0x3ff
	s_delay_alu instid0(SALU_CYCLE_1) | instskip(NEXT) | instid1(SALU_CYCLE_1)
	s_bitset1_b32 s0, 10
	s_mov_b32 m0, s0
	s_sendmsg sendmsg(MSG_INTERRUPT)
	s_mov_b32 m0, ttmp2
.LBB2_1836:                             ; =>This Inner Loop Header: Depth=1
	s_sethalt 5
	s_branch .LBB2_1836
.LBB2_1837:
	s_trap 2
	s_sendmsg_rtn_b32 s0, sendmsg(MSG_RTN_GET_DOORBELL)
	s_mov_b32 ttmp2, m0
	s_waitcnt lgkmcnt(0)
	s_and_b32 s0, s0, 0x3ff
	s_delay_alu instid0(SALU_CYCLE_1) | instskip(NEXT) | instid1(SALU_CYCLE_1)
	s_bitset1_b32 s0, 10
	s_mov_b32 m0, s0
	s_sendmsg sendmsg(MSG_INTERRUPT)
	s_mov_b32 m0, ttmp2
.LBB2_1838:                             ; =>This Inner Loop Header: Depth=1
	s_sethalt 5
	s_branch .LBB2_1838
.LBB2_1839:
	s_trap 2
	s_sendmsg_rtn_b32 s0, sendmsg(MSG_RTN_GET_DOORBELL)
	s_mov_b32 ttmp2, m0
	s_waitcnt lgkmcnt(0)
	s_and_b32 s0, s0, 0x3ff
	s_delay_alu instid0(SALU_CYCLE_1) | instskip(NEXT) | instid1(SALU_CYCLE_1)
	s_bitset1_b32 s0, 10
	s_mov_b32 m0, s0
	s_sendmsg sendmsg(MSG_INTERRUPT)
	s_mov_b32 m0, ttmp2
.LBB2_1840:                             ; =>This Inner Loop Header: Depth=1
	s_sethalt 5
	s_branch .LBB2_1840
.LBB2_1841:
	s_trap 2
	s_sendmsg_rtn_b32 s0, sendmsg(MSG_RTN_GET_DOORBELL)
	s_mov_b32 ttmp2, m0
	s_waitcnt lgkmcnt(0)
	s_and_b32 s0, s0, 0x3ff
	s_delay_alu instid0(SALU_CYCLE_1) | instskip(NEXT) | instid1(SALU_CYCLE_1)
	s_bitset1_b32 s0, 10
	s_mov_b32 m0, s0
	s_sendmsg sendmsg(MSG_INTERRUPT)
	s_mov_b32 m0, ttmp2
.LBB2_1842:                             ; =>This Inner Loop Header: Depth=1
	s_sethalt 5
	s_branch .LBB2_1842
.LBB2_1843:
	s_trap 2
	s_sendmsg_rtn_b32 s0, sendmsg(MSG_RTN_GET_DOORBELL)
	s_mov_b32 ttmp2, m0
	s_waitcnt lgkmcnt(0)
	s_and_b32 s0, s0, 0x3ff
	s_delay_alu instid0(SALU_CYCLE_1) | instskip(NEXT) | instid1(SALU_CYCLE_1)
	s_bitset1_b32 s0, 10
	s_mov_b32 m0, s0
	s_sendmsg sendmsg(MSG_INTERRUPT)
	s_mov_b32 m0, ttmp2
.LBB2_1844:                             ; =>This Inner Loop Header: Depth=1
	s_sethalt 5
	s_branch .LBB2_1844
.LBB2_1845:
	s_trap 2
	s_sendmsg_rtn_b32 s0, sendmsg(MSG_RTN_GET_DOORBELL)
	s_mov_b32 ttmp2, m0
	s_waitcnt lgkmcnt(0)
	s_and_b32 s0, s0, 0x3ff
	s_delay_alu instid0(SALU_CYCLE_1) | instskip(NEXT) | instid1(SALU_CYCLE_1)
	s_bitset1_b32 s0, 10
	s_mov_b32 m0, s0
	s_sendmsg sendmsg(MSG_INTERRUPT)
	s_mov_b32 m0, ttmp2
.LBB2_1846:                             ; =>This Inner Loop Header: Depth=1
	s_sethalt 5
	s_branch .LBB2_1846
.LBB2_1847:
	s_trap 2
	s_sendmsg_rtn_b32 s0, sendmsg(MSG_RTN_GET_DOORBELL)
	s_mov_b32 ttmp2, m0
	s_waitcnt lgkmcnt(0)
	s_and_b32 s0, s0, 0x3ff
	s_delay_alu instid0(SALU_CYCLE_1) | instskip(NEXT) | instid1(SALU_CYCLE_1)
	s_bitset1_b32 s0, 10
	s_mov_b32 m0, s0
	s_sendmsg sendmsg(MSG_INTERRUPT)
	s_mov_b32 m0, ttmp2
.LBB2_1848:                             ; =>This Inner Loop Header: Depth=1
	s_sethalt 5
	s_branch .LBB2_1848
.LBB2_1849:
	s_trap 2
	s_sendmsg_rtn_b32 s0, sendmsg(MSG_RTN_GET_DOORBELL)
	s_mov_b32 ttmp2, m0
	s_waitcnt lgkmcnt(0)
	s_and_b32 s0, s0, 0x3ff
	s_delay_alu instid0(SALU_CYCLE_1) | instskip(NEXT) | instid1(SALU_CYCLE_1)
	s_bitset1_b32 s0, 10
	s_mov_b32 m0, s0
	s_sendmsg sendmsg(MSG_INTERRUPT)
	s_mov_b32 m0, ttmp2
.LBB2_1850:                             ; =>This Inner Loop Header: Depth=1
	s_sethalt 5
	s_branch .LBB2_1850
.LBB2_1851:
	s_trap 2
	s_sendmsg_rtn_b32 s0, sendmsg(MSG_RTN_GET_DOORBELL)
	s_mov_b32 ttmp2, m0
	s_waitcnt lgkmcnt(0)
	s_and_b32 s0, s0, 0x3ff
	s_delay_alu instid0(SALU_CYCLE_1) | instskip(NEXT) | instid1(SALU_CYCLE_1)
	s_bitset1_b32 s0, 10
	s_mov_b32 m0, s0
	s_sendmsg sendmsg(MSG_INTERRUPT)
	s_mov_b32 m0, ttmp2
.LBB2_1852:                             ; =>This Inner Loop Header: Depth=1
	s_sethalt 5
	s_branch .LBB2_1852
.LBB2_1853:
	s_trap 2
	s_sendmsg_rtn_b32 s0, sendmsg(MSG_RTN_GET_DOORBELL)
	s_mov_b32 ttmp2, m0
	s_waitcnt lgkmcnt(0)
	s_and_b32 s0, s0, 0x3ff
	s_delay_alu instid0(SALU_CYCLE_1) | instskip(NEXT) | instid1(SALU_CYCLE_1)
	s_bitset1_b32 s0, 10
	s_mov_b32 m0, s0
	s_sendmsg sendmsg(MSG_INTERRUPT)
	s_mov_b32 m0, ttmp2
.LBB2_1854:                             ; =>This Inner Loop Header: Depth=1
	s_sethalt 5
	s_branch .LBB2_1854
.LBB2_1855:
	s_trap 2
	s_sendmsg_rtn_b32 s0, sendmsg(MSG_RTN_GET_DOORBELL)
	s_mov_b32 ttmp2, m0
	s_waitcnt lgkmcnt(0)
	s_and_b32 s0, s0, 0x3ff
	s_delay_alu instid0(SALU_CYCLE_1) | instskip(NEXT) | instid1(SALU_CYCLE_1)
	s_bitset1_b32 s0, 10
	s_mov_b32 m0, s0
	s_sendmsg sendmsg(MSG_INTERRUPT)
	s_mov_b32 m0, ttmp2
.LBB2_1856:                             ; =>This Inner Loop Header: Depth=1
	s_sethalt 5
	s_branch .LBB2_1856
.LBB2_1857:
	s_trap 2
	s_sendmsg_rtn_b32 s0, sendmsg(MSG_RTN_GET_DOORBELL)
	s_mov_b32 ttmp2, m0
	s_waitcnt lgkmcnt(0)
	s_and_b32 s0, s0, 0x3ff
	s_delay_alu instid0(SALU_CYCLE_1) | instskip(NEXT) | instid1(SALU_CYCLE_1)
	s_bitset1_b32 s0, 10
	s_mov_b32 m0, s0
	s_sendmsg sendmsg(MSG_INTERRUPT)
	s_mov_b32 m0, ttmp2
.LBB2_1858:                             ; =>This Inner Loop Header: Depth=1
	s_sethalt 5
	s_branch .LBB2_1858
.LBB2_1859:
	s_trap 2
	s_sendmsg_rtn_b32 s0, sendmsg(MSG_RTN_GET_DOORBELL)
	s_mov_b32 ttmp2, m0
	s_waitcnt lgkmcnt(0)
	s_and_b32 s0, s0, 0x3ff
	s_delay_alu instid0(SALU_CYCLE_1) | instskip(NEXT) | instid1(SALU_CYCLE_1)
	s_bitset1_b32 s0, 10
	s_mov_b32 m0, s0
	s_sendmsg sendmsg(MSG_INTERRUPT)
	s_mov_b32 m0, ttmp2
.LBB2_1860:                             ; =>This Inner Loop Header: Depth=1
	s_sethalt 5
	s_branch .LBB2_1860
.LBB2_1861:
	s_trap 2
	s_sendmsg_rtn_b32 s0, sendmsg(MSG_RTN_GET_DOORBELL)
	s_mov_b32 ttmp2, m0
	s_waitcnt lgkmcnt(0)
	s_and_b32 s0, s0, 0x3ff
	s_delay_alu instid0(SALU_CYCLE_1) | instskip(NEXT) | instid1(SALU_CYCLE_1)
	s_bitset1_b32 s0, 10
	s_mov_b32 m0, s0
	s_sendmsg sendmsg(MSG_INTERRUPT)
	s_mov_b32 m0, ttmp2
.LBB2_1862:                             ; =>This Inner Loop Header: Depth=1
	s_sethalt 5
	s_branch .LBB2_1862
.LBB2_1863:
	s_trap 2
	s_sendmsg_rtn_b32 s0, sendmsg(MSG_RTN_GET_DOORBELL)
	s_mov_b32 ttmp2, m0
	s_waitcnt lgkmcnt(0)
	s_and_b32 s0, s0, 0x3ff
	s_delay_alu instid0(SALU_CYCLE_1) | instskip(NEXT) | instid1(SALU_CYCLE_1)
	s_bitset1_b32 s0, 10
	s_mov_b32 m0, s0
	s_sendmsg sendmsg(MSG_INTERRUPT)
	s_mov_b32 m0, ttmp2
.LBB2_1864:                             ; =>This Inner Loop Header: Depth=1
	s_sethalt 5
	s_branch .LBB2_1864
.LBB2_1865:
	s_trap 2
	s_sendmsg_rtn_b32 s0, sendmsg(MSG_RTN_GET_DOORBELL)
	s_mov_b32 ttmp2, m0
	s_waitcnt lgkmcnt(0)
	s_and_b32 s0, s0, 0x3ff
	s_delay_alu instid0(SALU_CYCLE_1) | instskip(NEXT) | instid1(SALU_CYCLE_1)
	s_bitset1_b32 s0, 10
	s_mov_b32 m0, s0
	s_sendmsg sendmsg(MSG_INTERRUPT)
	s_mov_b32 m0, ttmp2
.LBB2_1866:                             ; =>This Inner Loop Header: Depth=1
	s_sethalt 5
	s_branch .LBB2_1866
.LBB2_1867:
	s_trap 2
	s_sendmsg_rtn_b32 s0, sendmsg(MSG_RTN_GET_DOORBELL)
	s_mov_b32 ttmp2, m0
	s_waitcnt lgkmcnt(0)
	s_and_b32 s0, s0, 0x3ff
	s_delay_alu instid0(SALU_CYCLE_1) | instskip(NEXT) | instid1(SALU_CYCLE_1)
	s_bitset1_b32 s0, 10
	s_mov_b32 m0, s0
	s_sendmsg sendmsg(MSG_INTERRUPT)
	s_mov_b32 m0, ttmp2
.LBB2_1868:                             ; =>This Inner Loop Header: Depth=1
	s_sethalt 5
	s_branch .LBB2_1868
.LBB2_1869:
	s_trap 2
	s_sendmsg_rtn_b32 s0, sendmsg(MSG_RTN_GET_DOORBELL)
	s_mov_b32 ttmp2, m0
	s_waitcnt lgkmcnt(0)
	s_and_b32 s0, s0, 0x3ff
	s_delay_alu instid0(SALU_CYCLE_1) | instskip(NEXT) | instid1(SALU_CYCLE_1)
	s_bitset1_b32 s0, 10
	s_mov_b32 m0, s0
	s_sendmsg sendmsg(MSG_INTERRUPT)
	s_mov_b32 m0, ttmp2
.LBB2_1870:                             ; =>This Inner Loop Header: Depth=1
	s_sethalt 5
	s_branch .LBB2_1870
.LBB2_1871:
	s_trap 2
	s_sendmsg_rtn_b32 s0, sendmsg(MSG_RTN_GET_DOORBELL)
	s_mov_b32 ttmp2, m0
	s_waitcnt lgkmcnt(0)
	s_and_b32 s0, s0, 0x3ff
	s_delay_alu instid0(SALU_CYCLE_1) | instskip(NEXT) | instid1(SALU_CYCLE_1)
	s_bitset1_b32 s0, 10
	s_mov_b32 m0, s0
	s_sendmsg sendmsg(MSG_INTERRUPT)
	s_mov_b32 m0, ttmp2
.LBB2_1872:                             ; =>This Inner Loop Header: Depth=1
	s_sethalt 5
	s_branch .LBB2_1872
.LBB2_1873:
	s_trap 2
	s_sendmsg_rtn_b32 s0, sendmsg(MSG_RTN_GET_DOORBELL)
	s_mov_b32 ttmp2, m0
	s_waitcnt lgkmcnt(0)
	s_and_b32 s0, s0, 0x3ff
	s_delay_alu instid0(SALU_CYCLE_1) | instskip(NEXT) | instid1(SALU_CYCLE_1)
	s_bitset1_b32 s0, 10
	s_mov_b32 m0, s0
	s_sendmsg sendmsg(MSG_INTERRUPT)
	s_mov_b32 m0, ttmp2
.LBB2_1874:                             ; =>This Inner Loop Header: Depth=1
	s_sethalt 5
	s_branch .LBB2_1874
.LBB2_1875:
	s_trap 2
	s_sendmsg_rtn_b32 s0, sendmsg(MSG_RTN_GET_DOORBELL)
	s_mov_b32 ttmp2, m0
	s_waitcnt lgkmcnt(0)
	s_and_b32 s0, s0, 0x3ff
	s_delay_alu instid0(SALU_CYCLE_1) | instskip(NEXT) | instid1(SALU_CYCLE_1)
	s_bitset1_b32 s0, 10
	s_mov_b32 m0, s0
	s_sendmsg sendmsg(MSG_INTERRUPT)
	s_mov_b32 m0, ttmp2
.LBB2_1876:                             ; =>This Inner Loop Header: Depth=1
	s_sethalt 5
	s_branch .LBB2_1876
.LBB2_1877:
	s_trap 2
	s_sendmsg_rtn_b32 s0, sendmsg(MSG_RTN_GET_DOORBELL)
	s_mov_b32 ttmp2, m0
	s_waitcnt lgkmcnt(0)
	s_and_b32 s0, s0, 0x3ff
	s_delay_alu instid0(SALU_CYCLE_1) | instskip(NEXT) | instid1(SALU_CYCLE_1)
	s_bitset1_b32 s0, 10
	s_mov_b32 m0, s0
	s_sendmsg sendmsg(MSG_INTERRUPT)
	s_mov_b32 m0, ttmp2
.LBB2_1878:                             ; =>This Inner Loop Header: Depth=1
	s_sethalt 5
	s_branch .LBB2_1878
.LBB2_1879:
	s_trap 2
	s_sendmsg_rtn_b32 s0, sendmsg(MSG_RTN_GET_DOORBELL)
	s_mov_b32 ttmp2, m0
	s_waitcnt lgkmcnt(0)
	s_and_b32 s0, s0, 0x3ff
	s_delay_alu instid0(SALU_CYCLE_1) | instskip(NEXT) | instid1(SALU_CYCLE_1)
	s_bitset1_b32 s0, 10
	s_mov_b32 m0, s0
	s_sendmsg sendmsg(MSG_INTERRUPT)
	s_mov_b32 m0, ttmp2
.LBB2_1880:                             ; =>This Inner Loop Header: Depth=1
	s_sethalt 5
	s_branch .LBB2_1880
.LBB2_1881:
	s_trap 2
	s_sendmsg_rtn_b32 s0, sendmsg(MSG_RTN_GET_DOORBELL)
	s_mov_b32 ttmp2, m0
	s_waitcnt lgkmcnt(0)
	s_and_b32 s0, s0, 0x3ff
	s_delay_alu instid0(SALU_CYCLE_1) | instskip(NEXT) | instid1(SALU_CYCLE_1)
	s_bitset1_b32 s0, 10
	s_mov_b32 m0, s0
	s_sendmsg sendmsg(MSG_INTERRUPT)
	s_mov_b32 m0, ttmp2
.LBB2_1882:                             ; =>This Inner Loop Header: Depth=1
	s_sethalt 5
	s_branch .LBB2_1882
.LBB2_1883:
	s_trap 2
	s_sendmsg_rtn_b32 s0, sendmsg(MSG_RTN_GET_DOORBELL)
	s_mov_b32 ttmp2, m0
	s_waitcnt lgkmcnt(0)
	s_and_b32 s0, s0, 0x3ff
	s_delay_alu instid0(SALU_CYCLE_1) | instskip(NEXT) | instid1(SALU_CYCLE_1)
	s_bitset1_b32 s0, 10
	s_mov_b32 m0, s0
	s_sendmsg sendmsg(MSG_INTERRUPT)
	s_mov_b32 m0, ttmp2
.LBB2_1884:                             ; =>This Inner Loop Header: Depth=1
	s_sethalt 5
	s_branch .LBB2_1884
.LBB2_1885:
	s_trap 2
	s_sendmsg_rtn_b32 s0, sendmsg(MSG_RTN_GET_DOORBELL)
	s_mov_b32 ttmp2, m0
	s_waitcnt lgkmcnt(0)
	s_and_b32 s0, s0, 0x3ff
	s_delay_alu instid0(SALU_CYCLE_1) | instskip(NEXT) | instid1(SALU_CYCLE_1)
	s_bitset1_b32 s0, 10
	s_mov_b32 m0, s0
	s_sendmsg sendmsg(MSG_INTERRUPT)
	s_mov_b32 m0, ttmp2
.LBB2_1886:                             ; =>This Inner Loop Header: Depth=1
	s_sethalt 5
	s_branch .LBB2_1886
.LBB2_1887:
	s_trap 2
	s_sendmsg_rtn_b32 s0, sendmsg(MSG_RTN_GET_DOORBELL)
	s_mov_b32 ttmp2, m0
	s_waitcnt lgkmcnt(0)
	s_and_b32 s0, s0, 0x3ff
	s_delay_alu instid0(SALU_CYCLE_1) | instskip(NEXT) | instid1(SALU_CYCLE_1)
	s_bitset1_b32 s0, 10
	s_mov_b32 m0, s0
	s_sendmsg sendmsg(MSG_INTERRUPT)
	s_mov_b32 m0, ttmp2
.LBB2_1888:                             ; =>This Inner Loop Header: Depth=1
	s_sethalt 5
	s_branch .LBB2_1888
.LBB2_1889:
	s_trap 2
	s_sendmsg_rtn_b32 s0, sendmsg(MSG_RTN_GET_DOORBELL)
	s_mov_b32 ttmp2, m0
	s_waitcnt lgkmcnt(0)
	s_and_b32 s0, s0, 0x3ff
	s_delay_alu instid0(SALU_CYCLE_1) | instskip(NEXT) | instid1(SALU_CYCLE_1)
	s_bitset1_b32 s0, 10
	s_mov_b32 m0, s0
	s_sendmsg sendmsg(MSG_INTERRUPT)
	s_mov_b32 m0, ttmp2
.LBB2_1890:                             ; =>This Inner Loop Header: Depth=1
	s_sethalt 5
	s_branch .LBB2_1890
.LBB2_1891:
	s_trap 2
	s_sendmsg_rtn_b32 s0, sendmsg(MSG_RTN_GET_DOORBELL)
	s_mov_b32 ttmp2, m0
	s_waitcnt lgkmcnt(0)
	s_and_b32 s0, s0, 0x3ff
	s_delay_alu instid0(SALU_CYCLE_1) | instskip(NEXT) | instid1(SALU_CYCLE_1)
	s_bitset1_b32 s0, 10
	s_mov_b32 m0, s0
	s_sendmsg sendmsg(MSG_INTERRUPT)
	s_mov_b32 m0, ttmp2
.LBB2_1892:                             ; =>This Inner Loop Header: Depth=1
	s_sethalt 5
	s_branch .LBB2_1892
.LBB2_1893:
	s_trap 2
	s_sendmsg_rtn_b32 s0, sendmsg(MSG_RTN_GET_DOORBELL)
	s_mov_b32 ttmp2, m0
	s_waitcnt lgkmcnt(0)
	s_and_b32 s0, s0, 0x3ff
	s_delay_alu instid0(SALU_CYCLE_1) | instskip(NEXT) | instid1(SALU_CYCLE_1)
	s_bitset1_b32 s0, 10
	s_mov_b32 m0, s0
	s_sendmsg sendmsg(MSG_INTERRUPT)
	s_mov_b32 m0, ttmp2
.LBB2_1894:                             ; =>This Inner Loop Header: Depth=1
	s_sethalt 5
	s_branch .LBB2_1894
.LBB2_1895:
	s_trap 2
	s_sendmsg_rtn_b32 s0, sendmsg(MSG_RTN_GET_DOORBELL)
	s_mov_b32 ttmp2, m0
	s_waitcnt lgkmcnt(0)
	s_and_b32 s0, s0, 0x3ff
	s_delay_alu instid0(SALU_CYCLE_1) | instskip(NEXT) | instid1(SALU_CYCLE_1)
	s_bitset1_b32 s0, 10
	s_mov_b32 m0, s0
	s_sendmsg sendmsg(MSG_INTERRUPT)
	s_mov_b32 m0, ttmp2
.LBB2_1896:                             ; =>This Inner Loop Header: Depth=1
	s_sethalt 5
	s_branch .LBB2_1896
.LBB2_1897:
	s_trap 2
	s_sendmsg_rtn_b32 s0, sendmsg(MSG_RTN_GET_DOORBELL)
	s_mov_b32 ttmp2, m0
	s_waitcnt lgkmcnt(0)
	s_and_b32 s0, s0, 0x3ff
	s_delay_alu instid0(SALU_CYCLE_1) | instskip(NEXT) | instid1(SALU_CYCLE_1)
	s_bitset1_b32 s0, 10
	s_mov_b32 m0, s0
	s_sendmsg sendmsg(MSG_INTERRUPT)
	s_mov_b32 m0, ttmp2
.LBB2_1898:                             ; =>This Inner Loop Header: Depth=1
	s_sethalt 5
	s_branch .LBB2_1898
.LBB2_1899:
	s_trap 2
	s_sendmsg_rtn_b32 s0, sendmsg(MSG_RTN_GET_DOORBELL)
	s_mov_b32 ttmp2, m0
	s_waitcnt lgkmcnt(0)
	s_and_b32 s0, s0, 0x3ff
	s_delay_alu instid0(SALU_CYCLE_1) | instskip(NEXT) | instid1(SALU_CYCLE_1)
	s_bitset1_b32 s0, 10
	s_mov_b32 m0, s0
	s_sendmsg sendmsg(MSG_INTERRUPT)
	s_mov_b32 m0, ttmp2
.LBB2_1900:                             ; =>This Inner Loop Header: Depth=1
	s_sethalt 5
	s_branch .LBB2_1900
.LBB2_1901:
	s_trap 2
	s_sendmsg_rtn_b32 s0, sendmsg(MSG_RTN_GET_DOORBELL)
	s_mov_b32 ttmp2, m0
	s_waitcnt lgkmcnt(0)
	s_and_b32 s0, s0, 0x3ff
	s_delay_alu instid0(SALU_CYCLE_1) | instskip(NEXT) | instid1(SALU_CYCLE_1)
	s_bitset1_b32 s0, 10
	s_mov_b32 m0, s0
	s_sendmsg sendmsg(MSG_INTERRUPT)
	s_mov_b32 m0, ttmp2
.LBB2_1902:                             ; =>This Inner Loop Header: Depth=1
	s_sethalt 5
	s_branch .LBB2_1902
.LBB2_1903:
	s_trap 2
	s_sendmsg_rtn_b32 s0, sendmsg(MSG_RTN_GET_DOORBELL)
	s_mov_b32 ttmp2, m0
	s_waitcnt lgkmcnt(0)
	s_and_b32 s0, s0, 0x3ff
	s_delay_alu instid0(SALU_CYCLE_1) | instskip(NEXT) | instid1(SALU_CYCLE_1)
	s_bitset1_b32 s0, 10
	s_mov_b32 m0, s0
	s_sendmsg sendmsg(MSG_INTERRUPT)
	s_mov_b32 m0, ttmp2
.LBB2_1904:                             ; =>This Inner Loop Header: Depth=1
	s_sethalt 5
	s_branch .LBB2_1904
.LBB2_1905:
	s_trap 2
	s_sendmsg_rtn_b32 s0, sendmsg(MSG_RTN_GET_DOORBELL)
	s_mov_b32 ttmp2, m0
	s_waitcnt lgkmcnt(0)
	s_and_b32 s0, s0, 0x3ff
	s_delay_alu instid0(SALU_CYCLE_1) | instskip(NEXT) | instid1(SALU_CYCLE_1)
	s_bitset1_b32 s0, 10
	s_mov_b32 m0, s0
	s_sendmsg sendmsg(MSG_INTERRUPT)
	s_mov_b32 m0, ttmp2
.LBB2_1906:                             ; =>This Inner Loop Header: Depth=1
	s_sethalt 5
	s_branch .LBB2_1906
.LBB2_1907:
	s_trap 2
	s_sendmsg_rtn_b32 s0, sendmsg(MSG_RTN_GET_DOORBELL)
	s_mov_b32 ttmp2, m0
	s_waitcnt lgkmcnt(0)
	s_and_b32 s0, s0, 0x3ff
	s_delay_alu instid0(SALU_CYCLE_1) | instskip(NEXT) | instid1(SALU_CYCLE_1)
	s_bitset1_b32 s0, 10
	s_mov_b32 m0, s0
	s_sendmsg sendmsg(MSG_INTERRUPT)
	s_mov_b32 m0, ttmp2
.LBB2_1908:                             ; =>This Inner Loop Header: Depth=1
	s_sethalt 5
	s_branch .LBB2_1908
.LBB2_1909:
	s_trap 2
	s_sendmsg_rtn_b32 s0, sendmsg(MSG_RTN_GET_DOORBELL)
	s_mov_b32 ttmp2, m0
	s_waitcnt lgkmcnt(0)
	s_and_b32 s0, s0, 0x3ff
	s_delay_alu instid0(SALU_CYCLE_1) | instskip(NEXT) | instid1(SALU_CYCLE_1)
	s_bitset1_b32 s0, 10
	s_mov_b32 m0, s0
	s_sendmsg sendmsg(MSG_INTERRUPT)
	s_mov_b32 m0, ttmp2
.LBB2_1910:                             ; =>This Inner Loop Header: Depth=1
	s_sethalt 5
	s_branch .LBB2_1910
.LBB2_1911:
	s_trap 2
	s_sendmsg_rtn_b32 s0, sendmsg(MSG_RTN_GET_DOORBELL)
	s_mov_b32 ttmp2, m0
	s_waitcnt lgkmcnt(0)
	s_and_b32 s0, s0, 0x3ff
	s_delay_alu instid0(SALU_CYCLE_1) | instskip(NEXT) | instid1(SALU_CYCLE_1)
	s_bitset1_b32 s0, 10
	s_mov_b32 m0, s0
	s_sendmsg sendmsg(MSG_INTERRUPT)
	s_mov_b32 m0, ttmp2
.LBB2_1912:                             ; =>This Inner Loop Header: Depth=1
	s_sethalt 5
	s_branch .LBB2_1912
.LBB2_1913:
	s_trap 2
	s_sendmsg_rtn_b32 s0, sendmsg(MSG_RTN_GET_DOORBELL)
	s_mov_b32 ttmp2, m0
	s_waitcnt lgkmcnt(0)
	s_and_b32 s0, s0, 0x3ff
	s_delay_alu instid0(SALU_CYCLE_1) | instskip(NEXT) | instid1(SALU_CYCLE_1)
	s_bitset1_b32 s0, 10
	s_mov_b32 m0, s0
	s_sendmsg sendmsg(MSG_INTERRUPT)
	s_mov_b32 m0, ttmp2
.LBB2_1914:                             ; =>This Inner Loop Header: Depth=1
	s_sethalt 5
	s_branch .LBB2_1914
.LBB2_1915:
	s_trap 2
	s_sendmsg_rtn_b32 s0, sendmsg(MSG_RTN_GET_DOORBELL)
	s_mov_b32 ttmp2, m0
	s_waitcnt lgkmcnt(0)
	s_and_b32 s0, s0, 0x3ff
	s_delay_alu instid0(SALU_CYCLE_1) | instskip(NEXT) | instid1(SALU_CYCLE_1)
	s_bitset1_b32 s0, 10
	s_mov_b32 m0, s0
	s_sendmsg sendmsg(MSG_INTERRUPT)
	s_mov_b32 m0, ttmp2
.LBB2_1916:                             ; =>This Inner Loop Header: Depth=1
	s_sethalt 5
	s_branch .LBB2_1916
.LBB2_1917:
	s_trap 2
	s_sendmsg_rtn_b32 s0, sendmsg(MSG_RTN_GET_DOORBELL)
	s_mov_b32 ttmp2, m0
	s_waitcnt lgkmcnt(0)
	s_and_b32 s0, s0, 0x3ff
	s_delay_alu instid0(SALU_CYCLE_1) | instskip(NEXT) | instid1(SALU_CYCLE_1)
	s_bitset1_b32 s0, 10
	s_mov_b32 m0, s0
	s_sendmsg sendmsg(MSG_INTERRUPT)
	s_mov_b32 m0, ttmp2
.LBB2_1918:                             ; =>This Inner Loop Header: Depth=1
	s_sethalt 5
	s_branch .LBB2_1918
.LBB2_1919:
	s_trap 2
	s_sendmsg_rtn_b32 s0, sendmsg(MSG_RTN_GET_DOORBELL)
	s_mov_b32 ttmp2, m0
	s_waitcnt lgkmcnt(0)
	s_and_b32 s0, s0, 0x3ff
	s_delay_alu instid0(SALU_CYCLE_1) | instskip(NEXT) | instid1(SALU_CYCLE_1)
	s_bitset1_b32 s0, 10
	s_mov_b32 m0, s0
	s_sendmsg sendmsg(MSG_INTERRUPT)
	s_mov_b32 m0, ttmp2
.LBB2_1920:                             ; =>This Inner Loop Header: Depth=1
	s_sethalt 5
	s_branch .LBB2_1920
.LBB2_1921:
	s_trap 2
	s_sendmsg_rtn_b32 s0, sendmsg(MSG_RTN_GET_DOORBELL)
	s_mov_b32 ttmp2, m0
	s_waitcnt lgkmcnt(0)
	s_and_b32 s0, s0, 0x3ff
	s_delay_alu instid0(SALU_CYCLE_1) | instskip(NEXT) | instid1(SALU_CYCLE_1)
	s_bitset1_b32 s0, 10
	s_mov_b32 m0, s0
	s_sendmsg sendmsg(MSG_INTERRUPT)
	s_mov_b32 m0, ttmp2
.LBB2_1922:                             ; =>This Inner Loop Header: Depth=1
	s_sethalt 5
	s_branch .LBB2_1922
.LBB2_1923:
	s_trap 2
	s_sendmsg_rtn_b32 s0, sendmsg(MSG_RTN_GET_DOORBELL)
	s_mov_b32 ttmp2, m0
	s_waitcnt lgkmcnt(0)
	s_and_b32 s0, s0, 0x3ff
	s_delay_alu instid0(SALU_CYCLE_1) | instskip(NEXT) | instid1(SALU_CYCLE_1)
	s_bitset1_b32 s0, 10
	s_mov_b32 m0, s0
	s_sendmsg sendmsg(MSG_INTERRUPT)
	s_mov_b32 m0, ttmp2
.LBB2_1924:                             ; =>This Inner Loop Header: Depth=1
	s_sethalt 5
	s_branch .LBB2_1924
.LBB2_1925:
	s_trap 2
	s_sendmsg_rtn_b32 s0, sendmsg(MSG_RTN_GET_DOORBELL)
	s_mov_b32 ttmp2, m0
	s_waitcnt lgkmcnt(0)
	s_and_b32 s0, s0, 0x3ff
	s_delay_alu instid0(SALU_CYCLE_1) | instskip(NEXT) | instid1(SALU_CYCLE_1)
	s_bitset1_b32 s0, 10
	s_mov_b32 m0, s0
	s_sendmsg sendmsg(MSG_INTERRUPT)
	s_mov_b32 m0, ttmp2
.LBB2_1926:                             ; =>This Inner Loop Header: Depth=1
	s_sethalt 5
	s_branch .LBB2_1926
.LBB2_1927:
	s_trap 2
	s_sendmsg_rtn_b32 s0, sendmsg(MSG_RTN_GET_DOORBELL)
	s_mov_b32 ttmp2, m0
	s_waitcnt lgkmcnt(0)
	s_and_b32 s0, s0, 0x3ff
	s_delay_alu instid0(SALU_CYCLE_1) | instskip(NEXT) | instid1(SALU_CYCLE_1)
	s_bitset1_b32 s0, 10
	s_mov_b32 m0, s0
	s_sendmsg sendmsg(MSG_INTERRUPT)
	s_mov_b32 m0, ttmp2
.LBB2_1928:                             ; =>This Inner Loop Header: Depth=1
	s_sethalt 5
	s_branch .LBB2_1928
.LBB2_1929:
	s_trap 2
	s_sendmsg_rtn_b32 s0, sendmsg(MSG_RTN_GET_DOORBELL)
	s_mov_b32 ttmp2, m0
	s_waitcnt lgkmcnt(0)
	s_and_b32 s0, s0, 0x3ff
	s_delay_alu instid0(SALU_CYCLE_1) | instskip(NEXT) | instid1(SALU_CYCLE_1)
	s_bitset1_b32 s0, 10
	s_mov_b32 m0, s0
	s_sendmsg sendmsg(MSG_INTERRUPT)
	s_mov_b32 m0, ttmp2
.LBB2_1930:                             ; =>This Inner Loop Header: Depth=1
	s_sethalt 5
	s_branch .LBB2_1930
.LBB2_1931:
	s_trap 2
	s_sendmsg_rtn_b32 s0, sendmsg(MSG_RTN_GET_DOORBELL)
	s_mov_b32 ttmp2, m0
	s_waitcnt lgkmcnt(0)
	s_and_b32 s0, s0, 0x3ff
	s_delay_alu instid0(SALU_CYCLE_1) | instskip(NEXT) | instid1(SALU_CYCLE_1)
	s_bitset1_b32 s0, 10
	s_mov_b32 m0, s0
	s_sendmsg sendmsg(MSG_INTERRUPT)
	s_mov_b32 m0, ttmp2
.LBB2_1932:                             ; =>This Inner Loop Header: Depth=1
	s_sethalt 5
	s_branch .LBB2_1932
.LBB2_1933:
	s_trap 2
	s_sendmsg_rtn_b32 s0, sendmsg(MSG_RTN_GET_DOORBELL)
	s_mov_b32 ttmp2, m0
	s_waitcnt lgkmcnt(0)
	s_and_b32 s0, s0, 0x3ff
	s_delay_alu instid0(SALU_CYCLE_1) | instskip(NEXT) | instid1(SALU_CYCLE_1)
	s_bitset1_b32 s0, 10
	s_mov_b32 m0, s0
	s_sendmsg sendmsg(MSG_INTERRUPT)
	s_mov_b32 m0, ttmp2
.LBB2_1934:                             ; =>This Inner Loop Header: Depth=1
	s_sethalt 5
	s_branch .LBB2_1934
.LBB2_1935:
	s_trap 2
	s_sendmsg_rtn_b32 s0, sendmsg(MSG_RTN_GET_DOORBELL)
	s_mov_b32 ttmp2, m0
	s_waitcnt lgkmcnt(0)
	s_and_b32 s0, s0, 0x3ff
	s_delay_alu instid0(SALU_CYCLE_1) | instskip(NEXT) | instid1(SALU_CYCLE_1)
	s_bitset1_b32 s0, 10
	s_mov_b32 m0, s0
	s_sendmsg sendmsg(MSG_INTERRUPT)
	s_mov_b32 m0, ttmp2
.LBB2_1936:                             ; =>This Inner Loop Header: Depth=1
	s_sethalt 5
	s_branch .LBB2_1936
.LBB2_1937:
	s_trap 2
	s_sendmsg_rtn_b32 s0, sendmsg(MSG_RTN_GET_DOORBELL)
	s_mov_b32 ttmp2, m0
	s_waitcnt lgkmcnt(0)
	s_and_b32 s0, s0, 0x3ff
	s_delay_alu instid0(SALU_CYCLE_1) | instskip(NEXT) | instid1(SALU_CYCLE_1)
	s_bitset1_b32 s0, 10
	s_mov_b32 m0, s0
	s_sendmsg sendmsg(MSG_INTERRUPT)
	s_mov_b32 m0, ttmp2
.LBB2_1938:                             ; =>This Inner Loop Header: Depth=1
	s_sethalt 5
	s_branch .LBB2_1938
.LBB2_1939:
	s_trap 2
	s_sendmsg_rtn_b32 s0, sendmsg(MSG_RTN_GET_DOORBELL)
	s_mov_b32 ttmp2, m0
	s_waitcnt lgkmcnt(0)
	s_and_b32 s0, s0, 0x3ff
	s_delay_alu instid0(SALU_CYCLE_1) | instskip(NEXT) | instid1(SALU_CYCLE_1)
	s_bitset1_b32 s0, 10
	s_mov_b32 m0, s0
	s_sendmsg sendmsg(MSG_INTERRUPT)
	s_mov_b32 m0, ttmp2
.LBB2_1940:                             ; =>This Inner Loop Header: Depth=1
	s_sethalt 5
	s_branch .LBB2_1940
.LBB2_1941:
	s_trap 2
	s_sendmsg_rtn_b32 s0, sendmsg(MSG_RTN_GET_DOORBELL)
	s_mov_b32 ttmp2, m0
	s_waitcnt lgkmcnt(0)
	s_and_b32 s0, s0, 0x3ff
	s_delay_alu instid0(SALU_CYCLE_1) | instskip(NEXT) | instid1(SALU_CYCLE_1)
	s_bitset1_b32 s0, 10
	s_mov_b32 m0, s0
	s_sendmsg sendmsg(MSG_INTERRUPT)
	s_mov_b32 m0, ttmp2
.LBB2_1942:                             ; =>This Inner Loop Header: Depth=1
	s_sethalt 5
	s_branch .LBB2_1942
.LBB2_1943:
	s_trap 2
	s_sendmsg_rtn_b32 s0, sendmsg(MSG_RTN_GET_DOORBELL)
	s_mov_b32 ttmp2, m0
	s_waitcnt lgkmcnt(0)
	s_and_b32 s0, s0, 0x3ff
	s_delay_alu instid0(SALU_CYCLE_1) | instskip(NEXT) | instid1(SALU_CYCLE_1)
	s_bitset1_b32 s0, 10
	s_mov_b32 m0, s0
	s_sendmsg sendmsg(MSG_INTERRUPT)
	s_mov_b32 m0, ttmp2
.LBB2_1944:                             ; =>This Inner Loop Header: Depth=1
	s_sethalt 5
	s_branch .LBB2_1944
.LBB2_1945:
	s_trap 2
	s_sendmsg_rtn_b32 s0, sendmsg(MSG_RTN_GET_DOORBELL)
	s_mov_b32 ttmp2, m0
	s_waitcnt lgkmcnt(0)
	s_and_b32 s0, s0, 0x3ff
	s_delay_alu instid0(SALU_CYCLE_1) | instskip(NEXT) | instid1(SALU_CYCLE_1)
	s_bitset1_b32 s0, 10
	s_mov_b32 m0, s0
	s_sendmsg sendmsg(MSG_INTERRUPT)
	s_mov_b32 m0, ttmp2
.LBB2_1946:                             ; =>This Inner Loop Header: Depth=1
	s_sethalt 5
	s_branch .LBB2_1946
.LBB2_1947:
	s_trap 2
	s_sendmsg_rtn_b32 s0, sendmsg(MSG_RTN_GET_DOORBELL)
	s_mov_b32 ttmp2, m0
	s_waitcnt lgkmcnt(0)
	s_and_b32 s0, s0, 0x3ff
	s_delay_alu instid0(SALU_CYCLE_1) | instskip(NEXT) | instid1(SALU_CYCLE_1)
	s_bitset1_b32 s0, 10
	s_mov_b32 m0, s0
	s_sendmsg sendmsg(MSG_INTERRUPT)
	s_mov_b32 m0, ttmp2
.LBB2_1948:                             ; =>This Inner Loop Header: Depth=1
	s_sethalt 5
	s_branch .LBB2_1948
.LBB2_1949:
	s_trap 2
	s_sendmsg_rtn_b32 s0, sendmsg(MSG_RTN_GET_DOORBELL)
	s_mov_b32 ttmp2, m0
	s_waitcnt lgkmcnt(0)
	s_and_b32 s0, s0, 0x3ff
	s_delay_alu instid0(SALU_CYCLE_1) | instskip(NEXT) | instid1(SALU_CYCLE_1)
	s_bitset1_b32 s0, 10
	s_mov_b32 m0, s0
	s_sendmsg sendmsg(MSG_INTERRUPT)
	s_mov_b32 m0, ttmp2
.LBB2_1950:                             ; =>This Inner Loop Header: Depth=1
	s_sethalt 5
	s_branch .LBB2_1950
.LBB2_1951:
	s_trap 2
	s_sendmsg_rtn_b32 s0, sendmsg(MSG_RTN_GET_DOORBELL)
	s_mov_b32 ttmp2, m0
	s_waitcnt lgkmcnt(0)
	s_and_b32 s0, s0, 0x3ff
	s_delay_alu instid0(SALU_CYCLE_1) | instskip(NEXT) | instid1(SALU_CYCLE_1)
	s_bitset1_b32 s0, 10
	s_mov_b32 m0, s0
	s_sendmsg sendmsg(MSG_INTERRUPT)
	s_mov_b32 m0, ttmp2
.LBB2_1952:                             ; =>This Inner Loop Header: Depth=1
	s_sethalt 5
	s_branch .LBB2_1952
.LBB2_1953:
	s_trap 2
	s_sendmsg_rtn_b32 s0, sendmsg(MSG_RTN_GET_DOORBELL)
	s_mov_b32 ttmp2, m0
	s_waitcnt lgkmcnt(0)
	s_and_b32 s0, s0, 0x3ff
	s_delay_alu instid0(SALU_CYCLE_1) | instskip(NEXT) | instid1(SALU_CYCLE_1)
	s_bitset1_b32 s0, 10
	s_mov_b32 m0, s0
	s_sendmsg sendmsg(MSG_INTERRUPT)
	s_mov_b32 m0, ttmp2
.LBB2_1954:                             ; =>This Inner Loop Header: Depth=1
	s_sethalt 5
	s_branch .LBB2_1954
.LBB2_1955:
	s_trap 2
	s_sendmsg_rtn_b32 s0, sendmsg(MSG_RTN_GET_DOORBELL)
	s_mov_b32 ttmp2, m0
	s_waitcnt lgkmcnt(0)
	s_and_b32 s0, s0, 0x3ff
	s_delay_alu instid0(SALU_CYCLE_1) | instskip(NEXT) | instid1(SALU_CYCLE_1)
	s_bitset1_b32 s0, 10
	s_mov_b32 m0, s0
	s_sendmsg sendmsg(MSG_INTERRUPT)
	s_mov_b32 m0, ttmp2
.LBB2_1956:                             ; =>This Inner Loop Header: Depth=1
	s_sethalt 5
	s_branch .LBB2_1956
.LBB2_1957:
	s_trap 2
	s_sendmsg_rtn_b32 s0, sendmsg(MSG_RTN_GET_DOORBELL)
	s_mov_b32 ttmp2, m0
	s_waitcnt lgkmcnt(0)
	s_and_b32 s0, s0, 0x3ff
	s_delay_alu instid0(SALU_CYCLE_1) | instskip(NEXT) | instid1(SALU_CYCLE_1)
	s_bitset1_b32 s0, 10
	s_mov_b32 m0, s0
	s_sendmsg sendmsg(MSG_INTERRUPT)
	s_mov_b32 m0, ttmp2
.LBB2_1958:                             ; =>This Inner Loop Header: Depth=1
	s_sethalt 5
	s_branch .LBB2_1958
.Lfunc_end2:
	.size	_ZN12_GLOBAL__N_17runRingId10FuncMinMaxIdE11ProtoSimpleILi2ELi2ELi0ELi1ELi0ELi0EELi0ELi0ELi1ELi0EEEviiP15ncclDevWorkColl, .Lfunc_end2-_ZN12_GLOBAL__N_17runRingId10FuncMinMaxIdE11ProtoSimpleILi2ELi2ELi0ELi1ELi0ELi0EELi0ELi0ELi1ELi0EEEviiP15ncclDevWorkColl
                                        ; -- End function
	.section	.AMDGPU.csdata,"",@progbits
; Function info:
; codeLenInByte = 57604
; NumSgprs: 43
; NumVgprs: 148
; ScratchSize: 80
; MemoryBound: 1
	.text
	.p2align	2                               ; -- Begin function _Z50ncclDevFunc_AllReduce_RING_SIMPLE_MinMax_f64_0_0_1v
	.type	_Z50ncclDevFunc_AllReduce_RING_SIMPLE_MinMax_f64_0_0_1v,@function
_Z50ncclDevFunc_AllReduce_RING_SIMPLE_MinMax_f64_0_0_1v: ; @_Z50ncclDevFunc_AllReduce_RING_SIMPLE_MinMax_f64_0_0_1v
; %bb.0:
	s_waitcnt vmcnt(0) expcnt(0) lgkmcnt(0)
	s_mov_b32 s0, s33
	s_mov_b32 s33, s32
	s_or_saveexec_b32 s1, -1
	scratch_store_b32 off, v40, s33 offset:8 ; 4-byte Folded Spill
	s_mov_b32 exec_lo, s1
	v_writelane_b32 v40, s0, 15
	s_add_i32 s32, s32, 16
	s_clause 0x1
	scratch_store_b32 off, v41, s33 offset:4
	; meta instruction
	scratch_store_b32 off, v42, s33
	v_writelane_b32 v40, s34, 0
	v_writelane_b32 v40, s35, 1
	;; [unrolled: 1-line block ×15, first 2 shown]
	s_cbranch_execnz .LBB3_7
; %bb.1:
	ds_load_b32 v0, v0
	v_and_b32_e32 v148, 0x3ff, v31
	s_mov_b32 s0, exec_lo
	s_waitcnt lgkmcnt(0)
	s_delay_alu instid0(VALU_DEP_1)
	v_cmpx_lt_i32_e64 v148, v0
	s_cbranch_execz .LBB3_9
; %bb.2:
	s_load_b32 s1, s[8:9], 0x0
	v_mov_b32_e32 v1, 0
	s_waitcnt lgkmcnt(0)
	s_cmp_lt_u32 s12, s1
	s_cselect_b32 s1, 12, 18
	s_delay_alu instid0(SALU_CYCLE_1)
	s_add_u32 s2, s8, s1
	s_addc_u32 s3, s9, 0
	s_mov_b32 s1, 0
	global_load_u16 v1, v1, s[2:3]
	s_cbranch_execnz .LBB3_24
; %bb.3:
	ds_load_b32 v2, v0
	v_mov_b32_e32 v3, v148
                                        ; implicit-def: $vgpr4
	s_waitcnt vmcnt(0) lgkmcnt(0)
	v_mul_lo_u32 v2, v2, v1
	s_branch .LBB3_5
	.p2align	6
.LBB3_4:                                ;   in Loop: Header=BB3_5 Depth=1
	s_or_b32 exec_lo, exec_lo, s2
	v_add_nc_u32_e32 v3, v3, v1
	v_add_nc_u32_e32 v4, v4, v2
	s_delay_alu instid0(VALU_DEP_2) | instskip(SKIP_1) | instid1(SALU_CYCLE_1)
	v_cmp_ge_i32_e32 vcc_lo, v3, v0
	s_or_b32 s1, vcc_lo, s1
	s_and_not1_b32 exec_lo, exec_lo, s1
	s_cbranch_execz .LBB3_9
.LBB3_5:                                ; =>This Inner Loop Header: Depth=1
	ds_load_b32 v5, v4
	s_mov_b32 s2, exec_lo
	s_waitcnt lgkmcnt(0)
	v_and_b32_e32 v5, 0x1000000, v5
	s_delay_alu instid0(VALU_DEP_1)
	v_cmpx_ne_u32_e32 0, v5
	s_cbranch_execz .LBB3_4
; %bb.6:                                ;   in Loop: Header=BB3_5 Depth=1
	ds_load_b64 v[5:6], v4 offset:104
	s_waitcnt lgkmcnt(0)
	flat_load_b64 v[5:6], v[5:6]
	s_waitcnt vmcnt(0) lgkmcnt(0)
	ds_store_b64 v4, v[5:6] offset:104
	s_branch .LBB3_4
.LBB3_7:
	s_trap 2
	s_sendmsg_rtn_b32 s0, sendmsg(MSG_RTN_GET_DOORBELL)
	s_mov_b32 ttmp2, m0
	s_waitcnt lgkmcnt(0)
	s_and_b32 s0, s0, 0x3ff
	s_delay_alu instid0(SALU_CYCLE_1) | instskip(NEXT) | instid1(SALU_CYCLE_1)
	s_bitset1_b32 s0, 10
	s_mov_b32 m0, s0
	s_sendmsg sendmsg(MSG_INTERRUPT)
	s_mov_b32 m0, ttmp2
.LBB3_8:                                ; =>This Inner Loop Header: Depth=1
	s_sethalt 5
	s_branch .LBB3_8
.LBB3_9:
	s_or_b32 exec_lo, exec_lo, s0
	s_waitcnt lgkmcnt(0)
	s_waitcnt_vscnt null, 0x0
	s_barrier
	buffer_gl0_inv
	s_cbranch_execnz .LBB3_22
; %bb.10:
	ds_load_b32 v0, v0
	s_waitcnt lgkmcnt(0)
	v_cmp_gt_i32_e32 vcc_lo, 1, v0
	s_cbranch_vccnz .LBB3_21
; %bb.11:
	s_mov_b32 s46, 0
	s_mov_b64 s[44:45], src_shared_base
.LBB3_12:                               ; =>This Inner Loop Header: Depth=1
	s_cbranch_execnz .LBB3_26
; %bb.13:                               ;   in Loop: Header=BB3_12 Depth=1
	ds_load_b32 v0, v0
	s_cmp_eq_u32 s46, 0
	s_cbranch_scc1 .LBB3_17
; %bb.14:                               ;   in Loop: Header=BB3_12 Depth=1
	s_cbranch_execnz .LBB3_30
; %bb.15:                               ;   in Loop: Header=BB3_12 Depth=1
	s_waitcnt lgkmcnt(0)
	ds_load_b32 v1, v0
	s_waitcnt lgkmcnt(0)
	v_xor_b32_e32 v1, v1, v0
	s_delay_alu instid0(VALU_DEP_1) | instskip(NEXT) | instid1(VALU_DEP_1)
	v_and_b32_e32 v1, 0xff0000, v1
	v_cmp_eq_u32_e32 vcc_lo, 0, v1
	s_cbranch_vccnz .LBB3_17
; %bb.16:                               ;   in Loop: Header=BB3_12 Depth=1
	s_waitcnt_vscnt null, 0x0
	s_barrier
	buffer_gl0_inv
	ds_load_b32 v0, v0
.LBB3_17:                               ;   in Loop: Header=BB3_12 Depth=1
	s_waitcnt lgkmcnt(0)
	v_lshrrev_b32_e32 v0, 11, v0
	s_mov_b32 s44, exec_lo
	s_delay_alu instid0(VALU_DEP_1) | instskip(NEXT) | instid1(VALU_DEP_1)
	v_and_b32_e32 v1, 0x1fe0, v0
	v_cmpx_lt_u32_e64 v148, v1
	s_cbranch_execz .LBB3_19
; %bb.18:                               ;   in Loop: Header=BB3_12 Depth=1
	v_dual_mov_b32 v149, v31 :: v_dual_mov_b32 v0, v148
	v_mov_b32_e32 v3, s45
	s_getpc_b64 s[0:1]
	s_add_u32 s0, s0, _ZN12_GLOBAL__N_17runRingId10FuncMinMaxIdE11ProtoSimpleILi2ELi2ELi0ELi1ELi0ELi0EELi0ELi0ELi1ELi0EEEviiP15ncclDevWorkColl@rel32@lo+4
	s_addc_u32 s1, s1, _ZN12_GLOBAL__N_17runRingId10FuncMinMaxIdE11ProtoSimpleILi2ELi2ELi0ELi1ELi0ELi0EELi0ELi0ELi1ELi0EEEviiP15ncclDevWorkColl@rel32@hi+12
	s_mov_b64 s[42:43], s[8:9]
	s_mov_b32 s41, s12
	s_swappc_b64 s[30:31], s[0:1]
	v_mov_b32_e32 v31, v149
	s_mov_b32 s12, s41
	s_mov_b64 s[8:9], s[42:43]
.LBB3_19:                               ;   in Loop: Header=BB3_12 Depth=1
	s_or_b32 exec_lo, exec_lo, s44
	s_cbranch_execnz .LBB3_28
; %bb.20:                               ;   in Loop: Header=BB3_12 Depth=1
	ds_load_b32 v0, v0
	s_add_i32 s46, s46, 1
	s_waitcnt lgkmcnt(0)
	v_cmp_lt_i32_e32 vcc_lo, s46, v0
	s_cbranch_vccnz .LBB3_12
.LBB3_21:
	s_clause 0x1
	scratch_load_b32 v42, off, s33
	scratch_load_b32 v41, off, s33 offset:4
	v_readlane_b32 s30, v40, 13
	v_readlane_b32 s31, v40, 14
	;; [unrolled: 1-line block ×16, first 2 shown]
	s_or_saveexec_b32 s1, -1
	scratch_load_b32 v40, off, s33 offset:8 ; 4-byte Folded Reload
	s_mov_b32 exec_lo, s1
	s_add_i32 s32, s32, -16
	s_mov_b32 s33, s0
	s_waitcnt vmcnt(0)
	s_setpc_b64 s[30:31]
.LBB3_22:
	s_trap 2
	s_sendmsg_rtn_b32 s0, sendmsg(MSG_RTN_GET_DOORBELL)
	s_mov_b32 ttmp2, m0
	s_waitcnt lgkmcnt(0)
	s_and_b32 s0, s0, 0x3ff
	s_delay_alu instid0(SALU_CYCLE_1) | instskip(NEXT) | instid1(SALU_CYCLE_1)
	s_bitset1_b32 s0, 10
	s_mov_b32 m0, s0
	s_sendmsg sendmsg(MSG_INTERRUPT)
	s_mov_b32 m0, ttmp2
.LBB3_23:                               ; =>This Inner Loop Header: Depth=1
	s_sethalt 5
	s_branch .LBB3_23
.LBB3_24:
	s_trap 2
	s_sendmsg_rtn_b32 s0, sendmsg(MSG_RTN_GET_DOORBELL)
	s_mov_b32 ttmp2, m0
	s_waitcnt lgkmcnt(0)
	s_and_b32 s0, s0, 0x3ff
	s_delay_alu instid0(SALU_CYCLE_1) | instskip(NEXT) | instid1(SALU_CYCLE_1)
	s_bitset1_b32 s0, 10
	s_mov_b32 m0, s0
	s_sendmsg sendmsg(MSG_INTERRUPT)
	s_mov_b32 m0, ttmp2
.LBB3_25:                               ; =>This Inner Loop Header: Depth=1
	s_sethalt 5
	s_branch .LBB3_25
.LBB3_26:
	s_trap 2
	s_sendmsg_rtn_b32 s0, sendmsg(MSG_RTN_GET_DOORBELL)
	s_mov_b32 ttmp2, m0
	s_waitcnt lgkmcnt(0)
	s_and_b32 s0, s0, 0x3ff
	s_delay_alu instid0(SALU_CYCLE_1) | instskip(NEXT) | instid1(SALU_CYCLE_1)
	s_bitset1_b32 s0, 10
	s_mov_b32 m0, s0
	s_sendmsg sendmsg(MSG_INTERRUPT)
	s_mov_b32 m0, ttmp2
.LBB3_27:                               ; =>This Inner Loop Header: Depth=1
	s_sethalt 5
	s_branch .LBB3_27
.LBB3_28:
	s_trap 2
	s_sendmsg_rtn_b32 s0, sendmsg(MSG_RTN_GET_DOORBELL)
	s_mov_b32 ttmp2, m0
	s_waitcnt lgkmcnt(0)
	s_and_b32 s0, s0, 0x3ff
	s_delay_alu instid0(SALU_CYCLE_1) | instskip(NEXT) | instid1(SALU_CYCLE_1)
	s_bitset1_b32 s0, 10
	s_mov_b32 m0, s0
	s_sendmsg sendmsg(MSG_INTERRUPT)
	s_mov_b32 m0, ttmp2
.LBB3_29:                               ; =>This Inner Loop Header: Depth=1
	s_sethalt 5
	s_branch .LBB3_29
.LBB3_30:
	s_trap 2
	s_sendmsg_rtn_b32 s0, sendmsg(MSG_RTN_GET_DOORBELL)
	s_mov_b32 ttmp2, m0
	s_waitcnt lgkmcnt(0)
	s_and_b32 s0, s0, 0x3ff
	s_delay_alu instid0(SALU_CYCLE_1) | instskip(NEXT) | instid1(SALU_CYCLE_1)
	s_bitset1_b32 s0, 10
	s_mov_b32 m0, s0
	s_sendmsg sendmsg(MSG_INTERRUPT)
	s_mov_b32 m0, ttmp2
.LBB3_31:                               ; =>This Inner Loop Header: Depth=1
	s_sethalt 5
	s_branch .LBB3_31
.Lfunc_end3:
	.size	_Z50ncclDevFunc_AllReduce_RING_SIMPLE_MinMax_f64_0_0_1v, .Lfunc_end3-_Z50ncclDevFunc_AllReduce_RING_SIMPLE_MinMax_f64_0_0_1v
                                        ; -- End function
	.section	.AMDGPU.csdata,"",@progbits
; Function info:
; codeLenInByte = 1168
; NumSgprs: 49
; NumVgprs: 150
; ScratchSize: 96
; MemoryBound: 0
	.text
	.p2align	2                               ; -- Begin function _ZN12_GLOBAL__N_17runRingId10FuncMinMaxIdE11ProtoSimpleILi2ELi2ELi0ELi2ELi0ELi0EELi0ELi0ELi2ELi0EEEviiP15ncclDevWorkColl
	.type	_ZN12_GLOBAL__N_17runRingId10FuncMinMaxIdE11ProtoSimpleILi2ELi2ELi0ELi2ELi0ELi0EELi0ELi0ELi2ELi0EEEviiP15ncclDevWorkColl,@function
_ZN12_GLOBAL__N_17runRingId10FuncMinMaxIdE11ProtoSimpleILi2ELi2ELi0ELi2ELi0ELi0EELi0ELi0ELi2ELi0EEEviiP15ncclDevWorkColl: ; @_ZN12_GLOBAL__N_17runRingId10FuncMinMaxIdE11ProtoSimpleILi2ELi2ELi0ELi2ELi0ELi0EELi0ELi0ELi2ELi0EEEviiP15ncclDevWorkColl
; %bb.0:
	s_waitcnt vmcnt(0) expcnt(0) lgkmcnt(0)
	s_mov_b32 s0, s33
	s_mov_b32 s33, s32
	s_or_saveexec_b32 s1, -1
	s_clause 0x1
	scratch_store_b32 off, v41, s33 offset:4
	; meta instruction
	scratch_store_b32 off, v42, s33 offset:8
	s_mov_b32 exec_lo, s1
	v_writelane_b32 v41, s0, 10
	s_add_i32 s32, s32, 16
	scratch_store_b32 off, v40, s33         ; 4-byte Folded Spill
	v_writelane_b32 v41, s34, 0
	v_writelane_b32 v41, s35, 1
	;; [unrolled: 1-line block ×10, first 2 shown]
	s_cbranch_execnz .LBB4_1412
; %bb.1:
	flat_load_b32 v7, v[2:3]
	ds_load_b32 v6, v0
	s_mov_b32 s0, exec_lo
                                        ; implicit-def: $vgpr32_vgpr33
                                        ; implicit-def: $vgpr14_vgpr15
                                        ; implicit-def: $vgpr4_vgpr5
	s_waitcnt lgkmcnt(0)
	v_readfirstlane_b32 s19, v6
	s_waitcnt vmcnt(0)
	v_and_b32_e32 v8, 0xff, v7
	s_delay_alu instid0(VALU_DEP_1)
	v_cmpx_ne_u32_e64 v8, v6
	s_xor_b32 s0, exec_lo, s0
	s_cbranch_execnz .LBB4_1414
; %bb.2:
	s_and_not1_saveexec_b32 s0, s0
	s_cbranch_execnz .LBB4_1419
.LBB4_3:
	s_or_b32 exec_lo, exec_lo, s0
	s_cbranch_execnz .LBB4_1420
.LBB4_4:
	ds_load_b64 v[6:7], v0
	s_mov_b32 s1, exec_lo
	s_waitcnt lgkmcnt(0)
	v_cmp_ne_u32_e32 vcc_lo, -1, v6
	v_cndmask_b32_e64 v35, 0, 1, vcc_lo
	v_cmp_ne_u32_e32 vcc_lo, -1, v7
	s_delay_alu instid0(VALU_DEP_2) | instskip(NEXT) | instid1(VALU_DEP_1)
	v_add_co_ci_u32_e64 v8, s0, 0, v35, vcc_lo
	v_lshlrev_b32_e32 v6, 1, v8
	s_delay_alu instid0(VALU_DEP_1)
	v_cmpx_le_i32_e64 v6, v1
	s_xor_b32 s18, exec_lo, s1
	s_cbranch_execz .LBB4_1665
; %bb.5:
	s_clause 0x3
	flat_load_b64 v[33:34], v[2:3] offset:104
	flat_load_b128 v[10:13], v[2:3] offset:16
	flat_load_u16 v7, v[2:3] offset:8
	flat_load_b32 v6, v[2:3] offset:4
	s_cbranch_execnz .LBB4_1422
; %bb.6:
	s_load_b32 s0, s[8:9], 0x0
	v_dual_mov_b32 v9, 0 :: v_dual_mov_b32 v30, 4
	s_waitcnt lgkmcnt(0)
	s_cmp_lt_u32 s12, s0
	s_cselect_b32 s0, 12, 18
	s_delay_alu instid0(SALU_CYCLE_1)
	s_add_u32 s0, s8, s0
	s_addc_u32 s1, s9, 0
	global_load_u16 v36, v9, s[0:1]
	ds_load_b32 v9, v0
	s_mov_b32 s1, exec_lo
	s_waitcnt lgkmcnt(0)
	v_readfirstlane_b32 s5, v9
	v_cmpx_ge_i32_e64 v0, v35
	s_cbranch_execz .LBB4_16
; %bb.7:
	v_cmp_le_u32_e64 s0, v8, v0
                                        ; implicit-def: $vgpr30
	s_delay_alu instid0(VALU_DEP_1) | instskip(NEXT) | instid1(SALU_CYCLE_1)
	s_and_saveexec_b32 s2, s0
	s_xor_b32 s0, exec_lo, s2
	s_cbranch_execz .LBB4_13
; %bb.8:
	v_cndmask_b32_e64 v9, 0, 1, vcc_lo
	s_mov_b32 s2, exec_lo
                                        ; implicit-def: $sgpr3
	s_delay_alu instid0(VALU_DEP_1) | instskip(NEXT) | instid1(VALU_DEP_1)
	v_sub_nc_u32_e32 v9, v1, v9
	v_cmpx_ge_u32_e64 v0, v9
	s_xor_b32 s2, exec_lo, s2
; %bb.9:
	s_mov_b32 s3, 16
                                        ; implicit-def: $vgpr8
; %bb.10:
	s_or_saveexec_b32 s2, s2
	v_mov_b32_e32 v30, s3
	s_xor_b32 exec_lo, exec_lo, s2
; %bb.11:
	v_sub_nc_u32_e32 v8, v1, v8
	s_delay_alu instid0(VALU_DEP_1) | instskip(SKIP_1) | instid1(VALU_DEP_1)
	v_cmp_ge_i32_e32 vcc_lo, v0, v8
	v_cndmask_b32_e64 v8, 0, 1, vcc_lo
	v_lshlrev_b32_e32 v30, 5, v8
; %bb.12:
	s_or_b32 exec_lo, exec_lo, s2
.LBB4_13:
	s_and_not1_saveexec_b32 s0, s0
; %bb.14:
	v_mov_b32_e32 v30, 8
; %bb.15:
	s_or_b32 exec_lo, exec_lo, s0
.LBB4_16:
	s_delay_alu instid0(SALU_CYCLE_1) | instskip(NEXT) | instid1(VALU_DEP_1)
	s_or_b32 exec_lo, exec_lo, s1
	v_and_b32_e32 v8, 36, v30
	s_delay_alu instid0(VALU_DEP_1)
	v_cmp_ne_u32_e32 vcc_lo, 0, v8
	v_mov_b32_e32 v8, -1
	s_and_saveexec_b32 s0, vcc_lo
	s_cbranch_execz .LBB4_19
; %bb.17:
	s_cbranch_execnz .LBB4_1424
; %bb.18:
	ds_load_b32 v8, v0
.LBB4_19:
	s_or_b32 exec_lo, exec_lo, s0
	v_and_b32_e32 v9, 24, v30
	s_mov_b32 s1, exec_lo
	s_delay_alu instid0(VALU_DEP_1)
	v_cmpx_ne_u32_e32 0, v9
	s_cbranch_execz .LBB4_22
; %bb.20:
	s_cbranch_execnz .LBB4_1426
; %bb.21:
	s_waitcnt lgkmcnt(0)
	ds_load_b32 v8, v0
.LBB4_22:
	s_or_b32 exec_lo, exec_lo, s1
	s_waitcnt vmcnt(1)
	v_lshrrev_b64 v[6:7], 31, v[6:7]
	v_mov_b32_e32 v18, 0
	v_mov_b32_e32 v19, 0
                                        ; implicit-def: $vgpr16_vgpr17
                                        ; implicit-def: $vgpr81
                                        ; implicit-def: $vgpr22_vgpr23
                                        ; implicit-def: $vgpr24_vgpr25
                                        ; implicit-def: $vgpr28_vgpr29
                                        ; implicit-def: $vgpr20_vgpr21
	s_delay_alu instid0(VALU_DEP_2) | instskip(NEXT) | instid1(VALU_DEP_2)
	v_dual_mov_b32 v6, v18 :: v_dual_and_b32 v37, 3, v6
	v_mov_b32_e32 v7, v19
	s_and_saveexec_b32 s0, vcc_lo
	s_cbranch_execz .LBB4_35
; %bb.23:
	s_cbranch_execnz .LBB4_1428
; %bb.24:
	ds_load_b64 v[6:7], v0
	s_waitcnt lgkmcnt(1)
	v_ashrrev_i32_e32 v9, 31, v8
	s_mov_b32 s1, exec_lo
	s_delay_alu instid0(VALU_DEP_1) | instskip(SKIP_2) | instid1(VALU_DEP_2)
	v_lshlrev_b64 v[16:17], 3, v[8:9]
	v_and_b32_e32 v9, 0xffff, v37
	s_waitcnt lgkmcnt(0)
	v_add_co_u32 v6, vcc_lo, v6, v16
	s_delay_alu instid0(VALU_DEP_3)
	v_add_co_ci_u32_e32 v7, vcc_lo, v7, v17, vcc_lo
	flat_load_b64 v[6:7], v[6:7]
	s_waitcnt vmcnt(0) lgkmcnt(0)
	v_mad_u64_u32 v[16:17], null, 0xa8, v9, v[6:7]
	flat_load_b32 v6, v[16:17] offset:640
	v_add_co_u32 v18, vcc_lo, 0x1f8, v16
	v_add_co_ci_u32_e32 v19, vcc_lo, 0, v17, vcc_lo
                                        ; implicit-def: $vgpr16_vgpr17
	s_waitcnt vmcnt(0) lgkmcnt(0)
	v_cmpx_eq_u32_e32 1, v6
	s_cbranch_execz .LBB4_27
; %bb.25:
	flat_load_b64 v[16:17], v[18:19] offset:144
	s_waitcnt vmcnt(0) lgkmcnt(0)
	flat_load_b64 v[6:7], v[16:17]
	s_cbranch_execnz .LBB4_1436
; %bb.26:
	s_waitcnt vmcnt(0) lgkmcnt(0)
	ds_store_b64 v0, v[6:7]
	flat_load_b64 v[6:7], v[16:17] offset:8
	v_or_b32_e32 v30, 0x2000, v30
	s_waitcnt vmcnt(0) lgkmcnt(0)
	ds_store_b64 v0, v[6:7]
	flat_load_b64 v[6:7], v[16:17] offset:16
	s_waitcnt vmcnt(0) lgkmcnt(0)
	ds_store_b64 v0, v[6:7]
.LBB4_27:
	s_or_b32 exec_lo, exec_lo, s1
	flat_load_b64 v[6:7], v[18:19] offset:104
	v_and_b32_e32 v9, 32, v30
	s_mov_b32 s1, exec_lo
                                        ; implicit-def: $vgpr20_vgpr21
	s_waitcnt vmcnt(0) lgkmcnt(0)
	v_add_co_u32 v6, vcc_lo, v6, 3
	v_add_co_ci_u32_e32 v23, vcc_lo, 0, v7, vcc_lo
	s_delay_alu instid0(VALU_DEP_2)
	v_and_b32_e32 v22, -4, v6
	v_cmpx_ne_u32_e32 0, v9
	s_cbranch_execz .LBB4_29
; %bb.28:
	flat_load_b64 v[20:21], v[18:19] offset:56
	s_waitcnt vmcnt(0) lgkmcnt(0)
	s_waitcnt_vscnt null, 0x0
	flat_store_b64 v[20:21], v[22:23]
.LBB4_29:
	s_or_b32 exec_lo, exec_lo, s1
	v_dual_mov_b32 v6, 0 :: v_dual_and_b32 v9, 4, v30
	v_mov_b32_e32 v7, 0
	s_mov_b32 s1, exec_lo
                                        ; implicit-def: $vgpr81
                                        ; implicit-def: $vgpr24_vgpr25
                                        ; implicit-def: $vgpr28_vgpr29
	s_delay_alu instid0(VALU_DEP_2)
	v_cmpx_ne_u32_e32 0, v9
	s_cbranch_execz .LBB4_34
; %bb.30:
	v_and_b32_e32 v6, 0x800, v30
	s_mov_b32 s2, exec_lo
	s_delay_alu instid0(VALU_DEP_1)
	v_cmpx_eq_u32_e32 0, v6
	s_cbranch_execz .LBB4_33
; %bb.31:
	s_cbranch_execnz .LBB4_1438
; %bb.32:
	ds_store_b64 v0, v[18:19]
.LBB4_33:
	s_or_b32 exec_lo, exec_lo, s2
	flat_load_b64 v[20:21], v[18:19] offset:48
	v_or_b32_e32 v26, 0x100, v30
	s_waitcnt vmcnt(0) lgkmcnt(0)
	flat_load_b64 v[28:29], v[20:21] glc
	s_clause 0x2
	flat_load_b32 v9, v[18:19] offset:72
	flat_load_b64 v[6:7], v[18:19] offset:96
	flat_load_b64 v[24:25], v[18:19] offset:16
	s_waitcnt vmcnt(2) lgkmcnt(2)
	v_ashrrev_i32_e32 v81, 3, v9
	s_waitcnt vmcnt(1) lgkmcnt(1)
	v_cmp_eq_u64_e32 vcc_lo, 0, v[6:7]
	v_cndmask_b32_e32 v30, v26, v30, vcc_lo
.LBB4_34:
	s_or_b32 exec_lo, exec_lo, s1
.LBB4_35:
	s_delay_alu instid0(SALU_CYCLE_1) | instskip(NEXT) | instid1(VALU_DEP_1)
	s_or_b32 exec_lo, exec_lo, s0
	v_and_b32_e32 v9, 24, v30
	s_mov_b32 s0, exec_lo
                                        ; implicit-def: $vgpr26_vgpr27
	s_delay_alu instid0(VALU_DEP_1)
	v_cmpx_ne_u32_e32 0, v9
	s_cbranch_execz .LBB4_45
; %bb.36:
	s_cbranch_execnz .LBB4_1430
; %bb.37:
	ds_load_b64 v[6:7], v0
	s_waitcnt lgkmcnt(1)
	v_ashrrev_i32_e32 v9, 31, v8
	v_or_b32_e32 v22, 0x100, v30
	s_mov_b32 s1, exec_lo
                                        ; implicit-def: $vgpr26_vgpr27
	s_delay_alu instid0(VALU_DEP_2) | instskip(SKIP_1) | instid1(VALU_DEP_1)
	v_lshlrev_b64 v[8:9], 3, v[8:9]
	s_waitcnt lgkmcnt(0)
	v_add_co_u32 v6, vcc_lo, v6, v8
	s_delay_alu instid0(VALU_DEP_2)
	v_add_co_ci_u32_e32 v7, vcc_lo, v7, v9, vcc_lo
	v_and_b32_e32 v8, 0xffff, v37
	flat_load_b64 v[6:7], v[6:7]
	s_waitcnt vmcnt(0) lgkmcnt(0)
	v_mad_u64_u32 v[18:19], null, 0xa8, v8, v[6:7]
	flat_load_b128 v[6:9], v[18:19] offset:96
	s_waitcnt vmcnt(0) lgkmcnt(0)
	v_cmp_eq_u64_e32 vcc_lo, 0, v[6:7]
	v_cndmask_b32_e32 v30, v22, v30, vcc_lo
	s_delay_alu instid0(VALU_DEP_1) | instskip(NEXT) | instid1(VALU_DEP_1)
	v_and_b32_e32 v22, 16, v30
	v_cmpx_ne_u32_e32 0, v22
; %bb.38:
	s_clause 0x2
	flat_load_b64 v[26:27], v[18:19] offset:120
	flat_load_b64 v[20:21], v[18:19] offset:48
	;; [unrolled: 1-line block ×3, first 2 shown]
; %bb.39:
	s_or_b32 exec_lo, exec_lo, s1
	v_and_b32_e32 v22, 8, v30
	s_mov_b32 s1, exec_lo
	s_delay_alu instid0(VALU_DEP_1)
	v_cmpx_ne_u32_e32 0, v22
	s_cbranch_execz .LBB4_44
; %bb.40:
	s_waitcnt vmcnt(1) lgkmcnt(1)
	v_and_b32_e32 v20, 0x800, v30
	s_mov_b32 s2, exec_lo
	s_delay_alu instid0(VALU_DEP_1)
	v_cmpx_eq_u32_e32 0, v20
	s_cbranch_execz .LBB4_43
; %bb.41:
	s_cbranch_execnz .LBB4_1440
; %bb.42:
	ds_store_b64 v0, v[18:19]
.LBB4_43:
	s_or_b32 exec_lo, exec_lo, s2
	flat_load_b64 v[20:21], v[18:19] offset:56
	s_waitcnt vmcnt(0) lgkmcnt(0)
	flat_load_b64 v[28:29], v[20:21] glc
	s_clause 0x1
	flat_load_b32 v22, v[18:19] offset:72
	flat_load_b64 v[24:25], v[18:19] offset:16
	s_waitcnt vmcnt(1) lgkmcnt(1)
	v_ashrrev_i32_e32 v81, 3, v22
.LBB4_44:
	s_or_b32 exec_lo, exec_lo, s1
	v_add_co_u32 v8, vcc_lo, v8, 3
	v_add_co_ci_u32_e32 v23, vcc_lo, 0, v9, vcc_lo
	s_delay_alu instid0(VALU_DEP_2)
	v_and_b32_e32 v22, -4, v8
.LBB4_45:
	s_or_b32 exec_lo, exec_lo, s0
	v_cmp_eq_u32_e64 s0, 0, v0
	s_delay_alu instid0(VALU_DEP_1)
	s_and_saveexec_b32 s1, s0
	s_cbranch_execz .LBB4_48
; %bb.46:
	s_waitcnt lgkmcnt(0)
	flat_load_b64 v[8:9], v[2:3] offset:32
	ds_store_2addr_b64 v0, v[12:13], v[10:11] offset1:1
	s_cbranch_execnz .LBB4_1432
; %bb.47:
	s_waitcnt vmcnt(0) lgkmcnt(1)
	ds_store_b64 v0, v[8:9]
	ds_store_b64 v0, v[33:34]
.LBB4_48:
	s_or_b32 exec_lo, exec_lo, s1
	v_mov_b32_e32 v12, 0
	s_waitcnt vmcnt(0)
	v_dual_mov_b32 v13, 0 :: v_dual_and_b32 v80, 0xffff, v36
	s_mov_b32 s2, exec_lo
	v_cmpx_lt_i64_e32 0, v[4:5]
	s_cbranch_execz .LBB4_1406
; %bb.49:
	s_waitcnt lgkmcnt(0)
	flat_load_b32 v8, v[2:3] offset:4
	v_dual_mov_b32 v3, 0 :: v_dual_and_b32 v2, 31, v31
	s_ashr_i32 s21, s19, 31
	s_add_u32 s22, s19, -1
	s_addc_u32 s23, s21, -1
	s_not_b32 s3, s19
	v_cmp_ge_i32_e32 vcc_lo, v0, v1
	v_cmp_eq_u32_e64 s1, 0, v2
	s_cmp_gt_i32 s19, 0
	s_cselect_b32 s3, s3, -1
	s_cbranch_execnz .LBB4_1434
; %bb.50:
	v_ashrrev_i32_e32 v9, 31, v0
	v_and_b32_e32 v2, 0x7ffffc0, v32
	v_lshrrev_b32_e32 v83, 5, v1
	s_ashr_i32 s6, s5, 31
	s_waitcnt vmcnt(0) lgkmcnt(0)
	v_and_b32_e32 v8, 1, v8
	v_lshrrev_b32_e32 v9, 27, v9
	s_lshr_b32 s6, s6, 29
	s_add_i32 s24, s19, s19
	s_add_i32 s5, s5, s6
	s_add_i32 s26, s3, s24
	v_add_nc_u32_e32 v9, v0, v9
	s_ashr_i32 s3, s5, 6
                                        ; implicit-def: $vgpr42 : SGPR spill to VGPR lane
	s_ashr_i32 s27, s26, 31
	s_lshr_b32 s5, s3, 28
	v_writelane_b32 v42, s2, 0
	v_and_b32_e32 v10, 0xffffffe0, v9
	s_add_i32 s3, s3, s5
	s_mov_b32 s2, 0
	s_ashr_i32 s25, s3, 4
	s_cmp_gt_i32 s19, 2
	v_sub_nc_u32_e32 v85, v0, v10
	v_lshl_add_u32 v10, v83, 11, 0xfffff800
	s_cselect_b32 s29, -1, 0
	s_add_i32 s3, s19, 1
	v_writelane_b32 v42, s2, 1
	v_cmp_lt_i32_e64 s15, v85, v35
	v_cmp_le_i32_e64 s12, v85, v35
	v_mov_b32_e32 v34, 0
	v_ashrrev_i32_e32 v84, 5, v9
	v_mov_b32_e32 v35, 0
	v_mov_b32_e32 v37, v3
	v_dual_mov_b32 v36, v2 :: v_dual_lshlrev_b32 v87, 9, v83
	s_delay_alu instid0(VALU_DEP_4) | instskip(SKIP_1) | instid1(VALU_DEP_3)
	v_dual_mov_b32 v128, 1 :: v_dual_lshlrev_b32 v9, 11, v84
	v_lshlrev_b32_e32 v98, 8, v83
	v_dual_mov_b32 v12, v34 :: v_dual_add_nc_u32 v97, 0xfffffe00, v87
	s_delay_alu instid0(VALU_DEP_3) | instskip(SKIP_1) | instid1(VALU_DEP_4)
	v_lshl_add_u32 v86, v85, 4, v9
	v_ashrrev_i32_e32 v9, 31, v10
	v_dual_mov_b32 v13, v35 :: v_dual_add_nc_u32 v102, 0xffffff00, v98
	v_add_co_u32 v99, s7, 0x800, v10
	v_ashrrev_i32_e32 v101, 31, v97
	s_delay_alu instid0(VALU_DEP_4) | instskip(SKIP_2) | instid1(VALU_DEP_4)
	v_add_co_ci_u32_e64 v100, s7, 0, v9, s7
	v_add_co_u32 v103, s7, 0x200, v97
	v_ashrrev_i32_e32 v113, 31, v102
	v_add_co_ci_u32_e64 v112, s7, 0, v101, s7
	v_add_co_u32 v114, s7, 0x100, v102
	s_delay_alu instid0(VALU_DEP_1) | instskip(SKIP_4) | instid1(VALU_DEP_4)
	v_add_co_ci_u32_e64 v115, s7, 0, v113, s7
	v_cmp_eq_u32_e64 s7, 1, v8
	v_lshlrev_b32_e32 v8, 10, v84
	v_mad_i64_i32 v[32:33], null, v2, s19, 0
	v_cmp_eq_u64_e64 s10, 0, v[26:27]
	s_xor_b32 s6, s7, -1
	s_delay_alu instid0(VALU_DEP_3)
	v_sub_nc_u32_e32 v116, v86, v8
	v_lshl_add_u32 v8, v83, 10, 0xfffffc00
	s_cmp_le_i32 s19, s3
	v_cmp_ne_u64_e64 s11, 0, v[26:27]
	s_cselect_b32 s13, s19, 0
	v_ashrrev_i32_e32 v82, 31, v81
	v_ashrrev_i32_e32 v9, 31, v8
	s_sub_i32 s14, s3, s13
	v_add_co_u32 v118, s13, 0x400, v8
	v_cmp_eq_u32_e64 s2, 32, v1
	v_cmp_ne_u32_e64 s36, 32, v1
	v_cmp_ne_u32_e64 s4, v80, v1
	v_cmp_gt_i32_e64 s5, 1, v85
	v_ashrrev_i32_e32 v96, 31, v86
	v_ashrrev_i32_e32 v117, 31, v116
	v_add_co_ci_u32_e64 v119, s13, 0, v9, s13
	v_writelane_b32 v42, s6, 2
	s_ashr_i32 s35, s14, 31
	s_add_i32 s31, s19, -2
	s_xor_b32 s34, vcc_lo, -1
	s_sub_i32 s13, 0, s19
	v_writelane_b32 v42, s15, 3
.LBB4_51:                               ; =>This Loop Header: Depth=1
                                        ;     Child Loop BB4_59 Depth 2
                                        ;       Child Loop BB4_68 Depth 3
                                        ;       Child Loop BB4_97 Depth 3
	;; [unrolled: 1-line block ×9, first 2 shown]
                                        ;     Child Loop BB4_225 Depth 2
                                        ;       Child Loop BB4_231 Depth 3
                                        ;       Child Loop BB4_260 Depth 3
	;; [unrolled: 1-line block ×3, first 2 shown]
                                        ;     Child Loop BB4_308 Depth 2
                                        ;       Child Loop BB4_310 Depth 3
                                        ;         Child Loop BB4_319 Depth 4
                                        ;         Child Loop BB4_351 Depth 4
                                        ;         Child Loop BB4_374 Depth 4
                                        ;         Child Loop BB4_401 Depth 4
                                        ;         Child Loop BB4_407 Depth 4
                                        ;         Child Loop BB4_418 Depth 4
                                        ;         Child Loop BB4_424 Depth 4
                                        ;         Child Loop BB4_436 Depth 4
                                        ;         Child Loop BB4_462 Depth 4
                                        ;       Child Loop BB4_483 Depth 3
                                        ;         Child Loop BB4_489 Depth 4
                                        ;         Child Loop BB4_519 Depth 4
	;; [unrolled: 1-line block ×3, first 2 shown]
                                        ;     Child Loop BB4_569 Depth 2
                                        ;       Child Loop BB4_578 Depth 3
                                        ;       Child Loop BB4_608 Depth 3
	;; [unrolled: 1-line block ×5, first 2 shown]
                                        ;         Child Loop BB4_666 Depth 4
                                        ;       Child Loop BB4_678 Depth 3
                                        ;       Child Loop BB4_684 Depth 3
                                        ;         Child Loop BB4_685 Depth 4
                                        ;       Child Loop BB4_701 Depth 3
                                        ;       Child Loop BB4_707 Depth 3
	;; [unrolled: 1-line block ×6, first 2 shown]
                                        ;     Child Loop BB4_783 Depth 2
                                        ;       Child Loop BB4_789 Depth 3
                                        ;       Child Loop BB4_821 Depth 3
	;; [unrolled: 1-line block ×3, first 2 shown]
                                        ;     Child Loop BB4_869 Depth 2
                                        ;       Child Loop BB4_871 Depth 3
                                        ;         Child Loop BB4_880 Depth 4
                                        ;         Child Loop BB4_912 Depth 4
	;; [unrolled: 1-line block ×5, first 2 shown]
                                        ;           Child Loop BB4_967 Depth 5
                                        ;         Child Loop BB4_978 Depth 4
                                        ;         Child Loop BB4_984 Depth 4
                                        ;           Child Loop BB4_985 Depth 5
                                        ;         Child Loop BB4_999 Depth 4
                                        ;         Child Loop BB4_1005 Depth 4
	;; [unrolled: 1-line block ×6, first 2 shown]
                                        ;       Child Loop BB4_1080 Depth 3
                                        ;         Child Loop BB4_1086 Depth 4
                                        ;         Child Loop BB4_1116 Depth 4
	;; [unrolled: 1-line block ×3, first 2 shown]
                                        ;     Child Loop BB4_1165 Depth 2
                                        ;       Child Loop BB4_1174 Depth 3
                                        ;       Child Loop BB4_1201 Depth 3
	;; [unrolled: 1-line block ×9, first 2 shown]
                                        ;     Child Loop BB4_1327 Depth 2
                                        ;       Child Loop BB4_1333 Depth 3
                                        ;       Child Loop BB4_1360 Depth 3
	;; [unrolled: 1-line block ×3, first 2 shown]
	v_sub_co_u32 v38, vcc_lo, v4, v34
	v_sub_co_ci_u32_e32 v39, vcc_lo, v5, v35, vcc_lo
	s_mov_b32 vcc_hi, exec_lo
	s_delay_alu instid0(VALU_DEP_1)
	v_cmpx_lt_i64_e64 v[38:39], v[32:33]
	s_cbranch_execz .LBB4_57
; %bb.52:                               ;   in Loop: Header=BB4_51 Depth=1
	v_add_co_u32 v2, vcc_lo, s22, v38
	v_add_co_ci_u32_e32 v10, vcc_lo, s23, v39, vcc_lo
	v_mov_b32_e32 v8, v3
	s_delay_alu instid0(VALU_DEP_2) | instskip(NEXT) | instid1(VALU_DEP_1)
	v_or_b32_e32 v9, s21, v10
	v_cmp_ne_u64_e32 vcc_lo, 0, v[8:9]
                                        ; implicit-def: $vgpr8_vgpr9
	s_and_saveexec_b32 s3, vcc_lo
	s_delay_alu instid0(SALU_CYCLE_1)
	s_xor_b32 s30, exec_lo, s3
	s_cbranch_execz .LBB4_54
; %bb.53:                               ;   in Loop: Header=BB4_51 Depth=1
	s_add_u32 s16, s19, s21
	s_mov_b32 s28, s24
	s_mov_b32 s24, s27
	;; [unrolled: 1-line block ×6, first 2 shown]
	s_addc_u32 s17, s21, s21
	s_mov_b32 s20, s13
	s_xor_b64 s[16:17], s[16:17], s[14:15]
	s_mov_b32 s3, s4
	v_cvt_f32_u32_e32 v8, s16
	v_cvt_f32_u32_e32 v9, s17
	s_sub_u32 s13, 0, s16
	s_subb_u32 s37, 0, s17
	s_mov_b32 s4, s29
	s_delay_alu instid0(VALU_DEP_1) | instskip(SKIP_2) | instid1(VALU_DEP_1)
	v_fmac_f32_e32 v8, 0x4f800000, v9
	s_mov_b32 s29, s4
	s_mov_b32 s4, s3
	v_rcp_f32_e32 v8, v8
	s_waitcnt_depctr 0xfff
	v_mul_f32_e32 v8, 0x5f7ffffc, v8
	s_delay_alu instid0(VALU_DEP_1) | instskip(NEXT) | instid1(VALU_DEP_1)
	v_mul_f32_e32 v9, 0x2f800000, v8
	v_trunc_f32_e32 v9, v9
	s_delay_alu instid0(VALU_DEP_1) | instskip(SKIP_1) | instid1(VALU_DEP_2)
	v_fmac_f32_e32 v8, 0xcf800000, v9
	v_cvt_u32_f32_e32 v9, v9
	v_cvt_u32_f32_e32 v8, v8
	s_delay_alu instid0(VALU_DEP_2) | instskip(NEXT) | instid1(VALU_DEP_2)
	v_mul_lo_u32 v11, s13, v9
	v_mul_hi_u32 v36, s13, v8
	v_mul_lo_u32 v37, s37, v8
	s_delay_alu instid0(VALU_DEP_2) | instskip(SKIP_1) | instid1(VALU_DEP_2)
	v_add_nc_u32_e32 v11, v36, v11
	v_mul_lo_u32 v36, s13, v8
	v_add_nc_u32_e32 v11, v11, v37
	s_delay_alu instid0(VALU_DEP_2) | instskip(NEXT) | instid1(VALU_DEP_2)
	v_mul_hi_u32 v37, v8, v36
	v_mul_lo_u32 v48, v8, v11
	v_mul_hi_u32 v49, v8, v11
	v_mul_hi_u32 v50, v9, v36
	v_mul_lo_u32 v36, v9, v36
	v_mul_hi_u32 v51, v9, v11
	v_mul_lo_u32 v11, v9, v11
	v_add_co_u32 v37, vcc_lo, v37, v48
	v_add_co_ci_u32_e32 v48, vcc_lo, 0, v49, vcc_lo
	s_delay_alu instid0(VALU_DEP_2) | instskip(NEXT) | instid1(VALU_DEP_2)
	v_add_co_u32 v36, vcc_lo, v37, v36
	v_add_co_ci_u32_e32 v36, vcc_lo, v48, v50, vcc_lo
	v_add_co_ci_u32_e32 v37, vcc_lo, 0, v51, vcc_lo
	v_ashrrev_i32_e32 v50, 31, v10
	s_delay_alu instid0(VALU_DEP_3) | instskip(NEXT) | instid1(VALU_DEP_3)
	v_add_co_u32 v11, vcc_lo, v36, v11
	v_add_co_ci_u32_e32 v36, vcc_lo, 0, v37, vcc_lo
	s_delay_alu instid0(VALU_DEP_2) | instskip(NEXT) | instid1(VALU_DEP_2)
	v_add_co_u32 v8, vcc_lo, v8, v11
	v_add_co_ci_u32_e32 v9, vcc_lo, v9, v36, vcc_lo
	s_delay_alu instid0(VALU_DEP_2) | instskip(SKIP_1) | instid1(VALU_DEP_3)
	v_mul_hi_u32 v11, s13, v8
	v_mul_lo_u32 v37, s37, v8
	v_mul_lo_u32 v36, s13, v9
	s_delay_alu instid0(VALU_DEP_1) | instskip(SKIP_1) | instid1(VALU_DEP_2)
	v_add_nc_u32_e32 v11, v11, v36
	v_mul_lo_u32 v36, s13, v8
	v_add_nc_u32_e32 v11, v11, v37
	s_delay_alu instid0(VALU_DEP_2) | instskip(NEXT) | instid1(VALU_DEP_2)
	v_mul_hi_u32 v37, v8, v36
	v_mul_lo_u32 v48, v8, v11
	v_mul_hi_u32 v49, v8, v11
	v_mul_hi_u32 v51, v9, v36
	v_mul_lo_u32 v36, v9, v36
	v_mul_hi_u32 v52, v9, v11
	v_mul_lo_u32 v11, v9, v11
	v_add_co_u32 v37, vcc_lo, v37, v48
	v_add_co_ci_u32_e32 v48, vcc_lo, 0, v49, vcc_lo
	s_delay_alu instid0(VALU_DEP_2) | instskip(NEXT) | instid1(VALU_DEP_2)
	v_add_co_u32 v36, vcc_lo, v37, v36
	v_add_co_ci_u32_e32 v36, vcc_lo, v48, v51, vcc_lo
	v_add_co_ci_u32_e32 v37, vcc_lo, 0, v52, vcc_lo
	v_add_co_u32 v2, vcc_lo, v2, v50
	v_add_co_ci_u32_e32 v10, vcc_lo, v10, v50, vcc_lo
	s_delay_alu instid0(VALU_DEP_4) | instskip(NEXT) | instid1(VALU_DEP_4)
	v_add_co_u32 v11, vcc_lo, v36, v11
	v_add_co_ci_u32_e32 v36, vcc_lo, 0, v37, vcc_lo
	s_delay_alu instid0(VALU_DEP_4) | instskip(NEXT) | instid1(VALU_DEP_3)
	v_xor_b32_e32 v2, v2, v50
	v_add_co_u32 v37, vcc_lo, v8, v11
	s_delay_alu instid0(VALU_DEP_3) | instskip(SKIP_1) | instid1(VALU_DEP_3)
	v_add_co_ci_u32_e32 v48, vcc_lo, v9, v36, vcc_lo
	v_xor_b32_e32 v49, v10, v50
	v_mul_hi_u32 v51, v2, v37
	s_delay_alu instid0(VALU_DEP_3) | instskip(NEXT) | instid1(VALU_DEP_3)
	v_mad_u64_u32 v[8:9], null, v2, v48, 0
	v_mad_u64_u32 v[10:11], null, v49, v37, 0
	;; [unrolled: 1-line block ×3, first 2 shown]
	s_delay_alu instid0(VALU_DEP_3) | instskip(NEXT) | instid1(VALU_DEP_4)
	v_add_co_u32 v8, vcc_lo, v51, v8
	v_add_co_ci_u32_e32 v9, vcc_lo, 0, v9, vcc_lo
	s_delay_alu instid0(VALU_DEP_2) | instskip(NEXT) | instid1(VALU_DEP_2)
	v_add_co_u32 v8, vcc_lo, v8, v10
	v_add_co_ci_u32_e32 v8, vcc_lo, v9, v11, vcc_lo
	v_add_co_ci_u32_e32 v9, vcc_lo, 0, v37, vcc_lo
	s_delay_alu instid0(VALU_DEP_2) | instskip(NEXT) | instid1(VALU_DEP_2)
	v_add_co_u32 v10, vcc_lo, v8, v36
	v_add_co_ci_u32_e32 v11, vcc_lo, 0, v9, vcc_lo
	s_delay_alu instid0(VALU_DEP_2) | instskip(SKIP_1) | instid1(VALU_DEP_3)
	v_mul_lo_u32 v36, s17, v10
	v_mad_u64_u32 v[8:9], null, s16, v10, 0
	v_mul_lo_u32 v37, s16, v11
	s_delay_alu instid0(VALU_DEP_2) | instskip(NEXT) | instid1(VALU_DEP_2)
	v_sub_co_u32 v2, vcc_lo, v2, v8
	v_add3_u32 v9, v9, v37, v36
	s_delay_alu instid0(VALU_DEP_1) | instskip(NEXT) | instid1(VALU_DEP_1)
	v_sub_nc_u32_e32 v36, v49, v9
	v_subrev_co_ci_u32_e64 v8, s13, s17, v36, vcc_lo
	v_add_co_u32 v36, s13, v10, 2
	s_delay_alu instid0(VALU_DEP_1) | instskip(SKIP_3) | instid1(VALU_DEP_3)
	v_add_co_ci_u32_e64 v37, s13, 0, v11, s13
	v_sub_co_u32 v48, s13, v2, s16
	v_sub_co_ci_u32_e32 v9, vcc_lo, v49, v9, vcc_lo
	v_subrev_co_ci_u32_e64 v8, s13, 0, v8, s13
	v_cmp_le_u32_e32 vcc_lo, s16, v48
	s_delay_alu instid0(VALU_DEP_3) | instskip(SKIP_1) | instid1(VALU_DEP_4)
	v_cmp_eq_u32_e64 s13, s17, v9
	v_cndmask_b32_e64 v48, 0, -1, vcc_lo
	v_cmp_le_u32_e32 vcc_lo, s17, v8
	v_cndmask_b32_e64 v49, 0, -1, vcc_lo
	v_cmp_le_u32_e32 vcc_lo, s16, v2
	;; [unrolled: 2-line block ×3, first 2 shown]
	v_cndmask_b32_e64 v51, 0, -1, vcc_lo
	v_cmp_eq_u32_e32 vcc_lo, s17, v8
	s_delay_alu instid0(VALU_DEP_2) | instskip(SKIP_3) | instid1(VALU_DEP_3)
	v_cndmask_b32_e64 v2, v51, v2, s13
	v_cndmask_b32_e32 v8, v49, v48, vcc_lo
	v_add_co_u32 v48, vcc_lo, v10, 1
	v_add_co_ci_u32_e32 v49, vcc_lo, 0, v11, vcc_lo
	v_cmp_ne_u32_e32 vcc_lo, 0, v8
	s_mov_b32 s13, s20
	s_delay_alu instid0(VALU_DEP_2)
	v_dual_cndmask_b32 v8, v49, v37 :: v_dual_cndmask_b32 v9, v48, v36
	v_cmp_ne_u32_e32 vcc_lo, 0, v2
	v_xor_b32_e32 v2, s14, v50
	s_mov_b32 s14, s36
	s_mov_b32 s36, s27
	s_mov_b32 s27, s24
	v_dual_cndmask_b32 v8, v11, v8 :: v_dual_cndmask_b32 v9, v10, v9
	v_xor_b32_e32 v10, s15, v50
	s_mov_b32 s24, s28
	s_delay_alu instid0(VALU_DEP_2) | instskip(NEXT) | instid1(VALU_DEP_2)
	v_xor_b32_e32 v9, v9, v2
	v_xor_b32_e32 v11, v8, v10
	s_delay_alu instid0(VALU_DEP_2) | instskip(NEXT) | instid1(VALU_DEP_2)
	v_sub_co_u32 v8, vcc_lo, v9, v2
	v_sub_co_ci_u32_e32 v9, vcc_lo, v11, v10, vcc_lo
                                        ; implicit-def: $vgpr2
.LBB4_54:                               ;   in Loop: Header=BB4_51 Depth=1
	s_and_not1_saveexec_b32 s3, s30
	s_cbranch_execz .LBB4_56
; %bb.55:                               ;   in Loop: Header=BB4_51 Depth=1
	v_cvt_f32_u32_e32 v8, s19
	s_delay_alu instid0(VALU_DEP_1) | instskip(SKIP_2) | instid1(VALU_DEP_1)
	v_rcp_iflag_f32_e32 v8, v8
	s_waitcnt_depctr 0xfff
	v_mul_f32_e32 v8, 0x4f7ffffe, v8
	v_cvt_u32_f32_e32 v8, v8
	s_delay_alu instid0(VALU_DEP_1) | instskip(NEXT) | instid1(VALU_DEP_1)
	v_mul_lo_u32 v9, s13, v8
	v_mul_hi_u32 v9, v8, v9
	s_delay_alu instid0(VALU_DEP_1) | instskip(NEXT) | instid1(VALU_DEP_1)
	v_add_nc_u32_e32 v8, v8, v9
	v_mul_hi_u32 v8, v2, v8
	s_delay_alu instid0(VALU_DEP_1) | instskip(NEXT) | instid1(VALU_DEP_1)
	v_mul_lo_u32 v9, v8, s19
	v_sub_nc_u32_e32 v2, v2, v9
	s_delay_alu instid0(VALU_DEP_1) | instskip(SKIP_1) | instid1(VALU_DEP_2)
	v_subrev_nc_u32_e32 v10, s19, v2
	v_cmp_le_u32_e32 vcc_lo, s19, v2
	v_dual_cndmask_b32 v2, v2, v10 :: v_dual_add_nc_u32 v9, 1, v8
	s_delay_alu instid0(VALU_DEP_1) | instskip(NEXT) | instid1(VALU_DEP_2)
	v_cndmask_b32_e32 v8, v8, v9, vcc_lo
	v_cmp_le_u32_e32 vcc_lo, s19, v2
	s_delay_alu instid0(VALU_DEP_2) | instskip(NEXT) | instid1(VALU_DEP_1)
	v_add_nc_u32_e32 v9, 1, v8
	v_cndmask_b32_e32 v2, v8, v9, vcc_lo
	s_delay_alu instid0(VALU_DEP_1)
	v_dual_mov_b32 v9, v3 :: v_dual_mov_b32 v8, v2
.LBB4_56:                               ;   in Loop: Header=BB4_51 Depth=1
	s_or_b32 exec_lo, exec_lo, s3
	s_delay_alu instid0(VALU_DEP_1) | instskip(NEXT) | instid1(VALU_DEP_2)
	v_add_co_u32 v2, vcc_lo, v8, 1
	v_add_co_ci_u32_e32 v37, vcc_lo, 0, v9, vcc_lo
	s_delay_alu instid0(VALU_DEP_2)
	v_and_b32_e32 v36, -2, v2
.LBB4_57:                               ;   in Loop: Header=BB4_51 Depth=1
	s_or_b32 exec_lo, exec_lo, vcc_hi
	s_delay_alu instid0(VALU_DEP_2) | instskip(NEXT) | instid1(VALU_DEP_2)
	v_mul_lo_u32 v2, v37, s26
	v_mul_lo_u32 v8, v36, s27
	v_mad_u64_u32 v[50:51], null, v36, s26, 0
	v_mov_b32_e32 v10, 0
	s_mov_b32 s16, 0
	s_delay_alu instid0(VALU_DEP_2) | instskip(NEXT) | instid1(VALU_DEP_3)
	v_add3_u32 v51, v51, v8, v2
	v_sub_co_u32 v8, vcc_lo, v38, v50
	s_delay_alu instid0(VALU_DEP_2) | instskip(NEXT) | instid1(VALU_DEP_1)
	v_sub_co_ci_u32_e32 v9, vcc_lo, v39, v51, vcc_lo
	v_cmp_lt_i64_e32 vcc_lo, v[36:37], v[8:9]
	v_cndmask_b32_e32 v8, v8, v36, vcc_lo
	v_add_co_u32 v48, vcc_lo, v34, v14
	v_add_co_ci_u32_e32 v49, vcc_lo, v35, v15, vcc_lo
	s_delay_alu instid0(VALU_DEP_3) | instskip(NEXT) | instid1(VALU_DEP_1)
	v_max_i32_e32 v66, 0, v8
	v_add_nc_u32_e32 v2, 31, v66
	s_delay_alu instid0(VALU_DEP_1) | instskip(NEXT) | instid1(VALU_DEP_1)
	v_lshrrev_b32_e32 v2, 1, v2
	v_and_b32_e32 v9, 0x3ffffff0, v2
	v_cmp_lt_i32_e32 vcc_lo, 0, v8
	v_mov_b32_e32 v2, 0
	s_delay_alu instid0(VALU_DEP_3) | instskip(SKIP_1) | instid1(SALU_CYCLE_1)
	v_max_i32_e32 v8, s25, v9
	s_and_b32 s3, s34, vcc_lo
	s_and_saveexec_b32 s15, s3
	s_cbranch_execz .LBB4_223
; %bb.58:                               ;   in Loop: Header=BB4_51 Depth=1
	v_lshlrev_b64 v[50:51], 3, v[50:51]
	v_mov_b32_e32 v10, 0
	s_mov_b32 s30, 1
	s_mov_b32 s17, -1
.LBB4_59:                               ;   Parent Loop BB4_51 Depth=1
                                        ; =>  This Loop Header: Depth=2
                                        ;       Child Loop BB4_68 Depth 3
                                        ;       Child Loop BB4_97 Depth 3
	;; [unrolled: 1-line block ×9, first 2 shown]
	s_and_saveexec_b32 s3, s0
	s_cbranch_execz .LBB4_62
; %bb.60:                               ;   in Loop: Header=BB4_59 Depth=2
	s_cbranch_execnz .LBB4_1457
; %bb.61:                               ;   in Loop: Header=BB4_59 Depth=2
	ds_load_b64 v[52:53], v0
	v_lshlrev_b64 v[54:55], 3, v[48:49]
	v_ashrrev_i32_e32 v11, 31, v10
	s_waitcnt lgkmcnt(0)
	s_delay_alu instid0(VALU_DEP_2) | instskip(NEXT) | instid1(VALU_DEP_3)
	v_add_co_u32 v2, vcc_lo, v52, v54
	v_add_co_ci_u32_e32 v9, vcc_lo, v53, v55, vcc_lo
	s_delay_alu instid0(VALU_DEP_3) | instskip(NEXT) | instid1(VALU_DEP_3)
	v_lshlrev_b64 v[52:53], 3, v[10:11]
	v_add_co_u32 v2, vcc_lo, v2, v50
	s_delay_alu instid0(VALU_DEP_3) | instskip(NEXT) | instid1(VALU_DEP_2)
	v_add_co_ci_u32_e32 v9, vcc_lo, v9, v51, vcc_lo
	v_add_co_u32 v52, vcc_lo, v2, v52
	s_delay_alu instid0(VALU_DEP_2)
	v_add_co_ci_u32_e32 v53, vcc_lo, v9, v53, vcc_lo
	v_mov_b32_e32 v2, v3
	ds_store_b64 v0, v[52:53]
	ds_store_b64 v0, v[2:3]
.LBB4_62:                               ;   in Loop: Header=BB4_59 Depth=2
	s_or_b32 exec_lo, exec_lo, s3
	v_and_b32_e32 v2, 8, v30
	s_mov_b32 s6, -1
	s_mov_b32 s3, exec_lo
	s_delay_alu instid0(VALU_DEP_1)
	v_cmpx_ne_u32_e32 0, v2
	s_cbranch_execz .LBB4_76
; %bb.63:                               ;   in Loop: Header=BB4_59 Depth=2
	v_add_co_u32 v54, vcc_lo, v28, 8
	v_add_co_ci_u32_e32 v55, vcc_lo, 0, v29, vcc_lo
	v_add_co_u32 v52, vcc_lo, v22, 2
	v_add_co_ci_u32_e32 v53, vcc_lo, 0, v23, vcc_lo
	v_mov_b32_e32 v2, 1
	s_mov_b32 s6, exec_lo
	s_delay_alu instid0(VALU_DEP_2)
	v_cmpx_lt_u64_e64 v[54:55], v[52:53]
	s_cbranch_execz .LBB4_75
; %bb.64:                               ;   in Loop: Header=BB4_59 Depth=2
	v_mov_b32_e32 v2, 0
	s_mov_b32 s20, 0
                                        ; implicit-def: $sgpr28
	s_branch .LBB4_68
.LBB4_65:                               ;   in Loop: Header=BB4_68 Depth=3
	s_or_b32 exec_lo, exec_lo, s39
	v_mov_b32_e32 v9, 0
	s_or_not1_b32 s38, s38, exec_lo
.LBB4_66:                               ;   in Loop: Header=BB4_68 Depth=3
	s_or_b32 exec_lo, exec_lo, s37
	s_delay_alu instid0(VALU_DEP_1) | instskip(SKIP_2) | instid1(SALU_CYCLE_1)
	v_mov_b32_e32 v2, v9
	s_and_not1_b32 s28, s28, exec_lo
	s_and_b32 vcc_lo, s38, exec_lo
	s_or_b32 s28, s28, vcc_lo
.LBB4_67:                               ;   in Loop: Header=BB4_68 Depth=3
	s_or_b32 exec_lo, exec_lo, vcc_hi
	s_waitcnt vmcnt(0) lgkmcnt(0)
	v_add_co_u32 v54, vcc_lo, v28, 8
	v_add_co_ci_u32_e32 v55, vcc_lo, 0, v29, vcc_lo
	s_delay_alu instid0(VALU_DEP_1) | instskip(SKIP_1) | instid1(SALU_CYCLE_1)
	v_cmp_ge_u64_e32 vcc_lo, v[54:55], v[52:53]
	s_xor_b32 vcc_hi, s28, -1
	s_or_b32 vcc_lo, vcc_hi, vcc_lo
	s_delay_alu instid0(SALU_CYCLE_1) | instskip(NEXT) | instid1(SALU_CYCLE_1)
	s_and_b32 vcc_lo, exec_lo, vcc_lo
	s_or_b32 s20, vcc_lo, s20
	s_delay_alu instid0(SALU_CYCLE_1)
	s_and_not1_b32 exec_lo, exec_lo, s20
	s_cbranch_execz .LBB4_74
.LBB4_68:                               ;   Parent Loop BB4_51 Depth=1
                                        ;     Parent Loop BB4_59 Depth=2
                                        ; =>    This Inner Loop Header: Depth=3
	s_sleep 1
	flat_load_b64 v[28:29], v[20:21] glc
	v_and_b32_e32 v9, 64, v30
	s_and_not1_b32 s28, s28, exec_lo
	s_mov_b32 vcc_hi, exec_lo
	s_delay_alu instid0(VALU_DEP_1)
	v_cmpx_eq_u32_e32 0, v9
	s_cbranch_execz .LBB4_67
; %bb.69:                               ;   in Loop: Header=BB4_68 Depth=3
	v_add_nc_u32_e32 v9, 1, v2
	s_mov_b32 s38, -1
	s_mov_b32 s37, exec_lo
	v_cmpx_lt_i32_e32 0x270e, v2
	s_cbranch_execz .LBB4_66
; %bb.70:                               ;   in Loop: Header=BB4_68 Depth=3
	s_cbranch_execnz .LBB4_1479
; %bb.71:                               ;   in Loop: Header=BB4_68 Depth=3
	ds_load_b64 v[54:55], v0
	s_mov_b32 s39, exec_lo
	s_waitcnt vmcnt(0) lgkmcnt(0)
	s_waitcnt_vscnt null, 0x0
	flat_load_b32 v2, v[54:55] glc
	s_waitcnt vmcnt(0) lgkmcnt(0)
	buffer_gl1_inv
	buffer_gl0_inv
	v_cmpx_ne_u32_e32 0, v2
	s_cbranch_execz .LBB4_65
; %bb.72:                               ;   in Loop: Header=BB4_68 Depth=3
	ds_store_b32 v0, v2
	s_cbranch_execnz .LBB4_1498
; %bb.73:                               ;   in Loop: Header=BB4_68 Depth=3
	v_or_b32_e32 v30, 64, v30
	s_xor_b32 s38, exec_lo, -1
	s_branch .LBB4_65
.LBB4_74:                               ;   in Loop: Header=BB4_59 Depth=2
	s_or_b32 exec_lo, exec_lo, s20
	v_and_b32_e32 v2, 8, v30
.LBB4_75:                               ;   in Loop: Header=BB4_59 Depth=2
	s_or_b32 exec_lo, exec_lo, s6
	s_delay_alu instid0(VALU_DEP_1)
	v_cmp_eq_u32_e32 vcc_lo, 0, v2
	;;#ASMSTART
	s_wakeup
	;;#ASMEND
	s_or_not1_b32 s6, vcc_lo, exec_lo
.LBB4_76:                               ;   in Loop: Header=BB4_59 Depth=2
	s_or_b32 exec_lo, exec_lo, s3
	v_sub_nc_u32_e32 v2, v66, v10
	s_xor_b32 s6, s6, -1
	s_delay_alu instid0(VALU_DEP_1)
	v_min_i32_e32 v8, v8, v2
	s_and_saveexec_b32 s3, s6
	s_cbranch_execz .LBB4_84
; %bb.77:                               ;   in Loop: Header=BB4_59 Depth=2
	v_and_b32_e32 v2, 0x100, v30
	v_and_b32_e32 v52, 7, v22
	s_mov_b32 s20, 0
	s_mov_b32 s6, exec_lo
                                        ; implicit-def: $vgpr54_vgpr55
	s_delay_alu instid0(VALU_DEP_2)
	v_cmpx_ne_u32_e32 0, v2
	s_xor_b32 s6, exec_lo, s6
	s_cbranch_execnz .LBB4_92
; %bb.78:                               ;   in Loop: Header=BB4_59 Depth=2
	s_and_not1_saveexec_b32 s6, s6
	s_cbranch_execnz .LBB4_95
.LBB4_79:                               ;   in Loop: Header=BB4_59 Depth=2
	s_or_b32 exec_lo, exec_lo, s6
	s_and_saveexec_b32 s6, s20
.LBB4_80:                               ;   in Loop: Header=BB4_59 Depth=2
	v_mul_lo_u32 v2, v3, v81
	v_mul_lo_u32 v9, v52, v82
	v_mad_u64_u32 v[54:55], null, v52, v81, 0
	s_delay_alu instid0(VALU_DEP_1)
	v_add3_u32 v55, v55, v9, v2
.LBB4_81:                               ;   in Loop: Header=BB4_59 Depth=2
	s_or_b32 exec_lo, exec_lo, s6
	s_delay_alu instid0(VALU_DEP_1) | instskip(SKIP_2) | instid1(VALU_DEP_2)
	v_lshlrev_b64 v[52:53], 3, v[54:55]
	v_and_b32_e32 v2, 0x2000, v30
	s_mov_b32 s6, exec_lo
	v_add_co_u32 v52, vcc_lo, v24, v52
	s_delay_alu instid0(VALU_DEP_3)
	v_add_co_ci_u32_e32 v53, vcc_lo, v25, v53, vcc_lo
	ds_store_b64 v0, v[52:53] offset:784
	v_cmpx_ne_u32_e32 0, v2
	s_cbranch_execz .LBB4_83
; %bb.82:                               ;   in Loop: Header=BB4_59 Depth=2
	ds_load_b64 v[52:53], v0 offset:584
	s_waitcnt lgkmcnt(0)
	v_add_co_u32 v52, vcc_lo, v52, 1
	v_add_co_ci_u32_e32 v53, vcc_lo, 0, v53, vcc_lo
	ds_store_b64 v0, v[52:53] offset:584
.LBB4_83:                               ;   in Loop: Header=BB4_59 Depth=2
	s_or_b32 exec_lo, exec_lo, s6
	v_add_co_u32 v22, vcc_lo, v22, 2
	v_add_co_ci_u32_e32 v23, vcc_lo, 0, v23, vcc_lo
.LBB4_84:                               ;   in Loop: Header=BB4_59 Depth=2
	s_or_b32 exec_lo, exec_lo, s3
	s_and_saveexec_b32 s6, s36
	s_cbranch_execz .LBB4_110
; %bb.85:                               ;   in Loop: Header=BB4_59 Depth=2
	s_and_saveexec_b32 s3, s4
	s_delay_alu instid0(SALU_CYCLE_1)
	s_xor_b32 s3, exec_lo, s3
	s_cbranch_execz .LBB4_107
; %bb.86:                               ;   in Loop: Header=BB4_59 Depth=2
	s_and_saveexec_b32 s20, s1
	s_cbranch_execz .LBB4_106
; %bb.87:                               ;   in Loop: Header=BB4_59 Depth=2
	s_mov_b32 s28, exec_lo
	s_mov_b32 s37, exec_lo
	v_mbcnt_lo_u32_b32 v2, s28, 0
	s_waitcnt lgkmcnt(0)
	s_waitcnt_vscnt null, 0x0
	buffer_gl1_inv
	buffer_gl0_inv
	v_cmpx_eq_u32_e32 0, v2
	s_cbranch_execz .LBB4_89
; %bb.88:                               ;   in Loop: Header=BB4_59 Depth=2
	s_bcnt1_i32_b32 s28, s28
	s_delay_alu instid0(SALU_CYCLE_1)
	v_mov_b32_e32 v2, s28
	ds_add_u64 v0, v[2:3]
	s_cbranch_execnz .LBB4_1524
.LBB4_89:                               ;   in Loop: Header=BB4_59 Depth=2
	s_or_b32 exec_lo, exec_lo, s37
	s_cbranch_execnz .LBB4_1504
; %bb.90:                               ;   in Loop: Header=BB4_59 Depth=2
	ds_load_b64 v[52:53], v0
	v_add_co_u32 v12, vcc_lo, v12, v83
	v_add_co_ci_u32_e32 v13, vcc_lo, 0, v13, vcc_lo
	s_mov_b32 s28, s29
	s_mov_b32 s29, s34
	s_mov_b32 vcc_hi, s31
	s_mov_b32 s31, exec_lo
	s_waitcnt lgkmcnt(0)
	v_cmpx_lt_u64_e64 v[52:53], v[12:13]
	s_cbranch_execz .LBB4_105
; %bb.91:                               ;   in Loop: Header=BB4_59 Depth=2
	s_mov_b32 s34, 0
	s_mov_b32 s39, 0
                                        ; implicit-def: $sgpr37
                                        ; implicit-def: $sgpr38
	s_branch .LBB4_97
.LBB4_92:                               ;   in Loop: Header=BB4_59 Depth=2
	v_mad_u64_u32 v[64:65], null, v52, 24, v[6:7]
	v_ashrrev_i32_e32 v9, 31, v8
	s_mov_b32 s20, -1
	s_mov_b32 s28, exec_lo
	s_delay_alu instid0(VALU_DEP_1)
	v_lshlrev_b64 v[53:54], 3, v[8:9]
	flat_load_b32 v2, v[64:65]
	flat_store_b64 v[64:65], v[53:54] offset:8
                                        ; implicit-def: $vgpr54_vgpr55
	s_waitcnt vmcnt(0) lgkmcnt(1)
	v_cmpx_eq_u32_e32 1, v2
	s_cbranch_execz .LBB4_94
; %bb.93:                               ;   in Loop: Header=BB4_59 Depth=2
	flat_load_b32 v52, v[64:65] offset:4 glc
	s_xor_b32 s20, exec_lo, -1
	s_waitcnt vmcnt(0) lgkmcnt(0)
	v_ashrrev_i32_e32 v53, 31, v52
	s_delay_alu instid0(VALU_DEP_1)
	v_lshrrev_b64 v[54:55], 3, v[52:53]
                                        ; implicit-def: $vgpr52_vgpr53
.LBB4_94:                               ;   in Loop: Header=BB4_59 Depth=2
	s_or_b32 exec_lo, exec_lo, s28
	s_delay_alu instid0(SALU_CYCLE_1)
	s_and_b32 s20, s20, exec_lo
	s_and_not1_saveexec_b32 s6, s6
	s_cbranch_execz .LBB4_79
.LBB4_95:                               ;   in Loop: Header=BB4_59 Depth=2
	s_or_b32 s20, s20, exec_lo
                                        ; implicit-def: $vgpr54_vgpr55
	s_or_b32 exec_lo, exec_lo, s6
	s_and_saveexec_b32 s6, s20
	s_cbranch_execnz .LBB4_80
	s_branch .LBB4_81
.LBB4_96:                               ;   in Loop: Header=BB4_97 Depth=3
	s_or_b32 exec_lo, exec_lo, s41
	s_delay_alu instid0(SALU_CYCLE_1) | instskip(NEXT) | instid1(SALU_CYCLE_1)
	s_and_b32 vcc_lo, exec_lo, vcc_lo
	s_or_b32 s34, vcc_lo, s34
	s_and_not1_b32 vcc_lo, s37, exec_lo
	s_and_b32 s37, s38, exec_lo
	s_delay_alu instid0(SALU_CYCLE_1)
	s_or_b32 s37, vcc_lo, s37
	s_and_not1_b32 exec_lo, exec_lo, s34
	s_cbranch_execz .LBB4_103
.LBB4_97:                               ;   Parent Loop BB4_51 Depth=1
                                        ;     Parent Loop BB4_59 Depth=2
                                        ; =>    This Inner Loop Header: Depth=3
	s_add_i32 s39, s39, 1
                                        ; implicit-def: $sgpr41
	s_delay_alu instid0(SALU_CYCLE_1) | instskip(SKIP_1) | instid1(SALU_CYCLE_1)
	s_cmpk_lg_i32 s39, 0x2710
	s_cselect_b32 s40, -1, 0
	s_and_b32 vcc_lo, exec_lo, s40
	s_cbranch_vccz .LBB4_101
.LBB4_98:                               ;   in Loop: Header=BB4_97 Depth=3
	s_and_not1_b32 s38, s38, exec_lo
	s_and_b32 s41, s41, exec_lo
	s_mov_b32 vcc_lo, -1
	s_or_b32 s38, s38, s41
	s_and_saveexec_b32 s41, s40
	s_cbranch_execz .LBB4_96
; %bb.99:                               ;   in Loop: Header=BB4_97 Depth=3
	s_sleep 1
	s_cbranch_execnz .LBB4_1552
; %bb.100:                              ;   in Loop: Header=BB4_97 Depth=3
	ds_load_b64 v[52:53], v0
	s_and_not1_b32 s38, s38, exec_lo
	s_waitcnt lgkmcnt(0)
	v_cmp_ge_u64_e32 vcc_lo, v[52:53], v[12:13]
	s_or_not1_b32 vcc_lo, vcc_lo, exec_lo
	s_branch .LBB4_96
.LBB4_101:                              ;   in Loop: Header=BB4_97 Depth=3
	s_cbranch_execnz .LBB4_1558
; %bb.102:                              ;   in Loop: Header=BB4_97 Depth=3
	ds_load_b64 v[52:53], v0
	s_and_not1_b32 s40, s40, exec_lo
	s_mov_b32 s39, 0
	s_mov_b32 s41, -1
	s_waitcnt lgkmcnt(0)
	flat_load_b32 v2, v[52:53] glc
	s_waitcnt vmcnt(0) lgkmcnt(0)
	buffer_gl1_inv
	buffer_gl0_inv
	v_cmp_eq_u32_e32 vcc_lo, 0, v2
	s_and_b32 vcc_lo, vcc_lo, exec_lo
	s_delay_alu instid0(SALU_CYCLE_1)
	s_or_b32 s40, s40, vcc_lo
	s_branch .LBB4_98
.LBB4_103:                              ;   in Loop: Header=BB4_59 Depth=2
	s_or_b32 exec_lo, exec_lo, s34
	s_and_saveexec_b32 vcc_lo, s37
	s_delay_alu instid0(SALU_CYCLE_1)
	s_xor_b32 vcc_lo, exec_lo, vcc_lo
	s_cbranch_execz .LBB4_105
; %bb.104:                              ;   in Loop: Header=BB4_59 Depth=2
	ds_store_b32 v0, v128
	s_cbranch_execnz .LBB4_1772
.LBB4_105:                              ;   in Loop: Header=BB4_59 Depth=2
	s_or_b32 exec_lo, exec_lo, s31
	s_mov_b32 s31, vcc_hi
	s_mov_b32 s34, s29
	s_mov_b32 s29, s28
	;;#ASMSTART
	s_wakeup
	;;#ASMEND
.LBB4_106:                              ;   in Loop: Header=BB4_59 Depth=2
	s_or_b32 exec_lo, exec_lo, s20
.LBB4_107:                              ;   in Loop: Header=BB4_59 Depth=2
	s_and_not1_saveexec_b32 s3, s3
	s_cbranch_execz .LBB4_109
; %bb.108:                              ;   in Loop: Header=BB4_59 Depth=2
	s_waitcnt lgkmcnt(0)
	s_waitcnt_vscnt null, 0x0
	buffer_gl1_inv
	buffer_gl0_inv
	s_barrier
.LBB4_109:                              ;   in Loop: Header=BB4_59 Depth=2
	s_or_b32 exec_lo, exec_lo, s3
.LBB4_110:                              ;   in Loop: Header=BB4_59 Depth=2
	s_delay_alu instid0(SALU_CYCLE_1)
	s_or_b32 exec_lo, exec_lo, s6
	s_cbranch_execnz .LBB4_1455
; %bb.111:                              ;   in Loop: Header=BB4_59 Depth=2
	ds_load_b32 v11, v0
	v_and_b32_e32 v2, 0x4000, v30
	s_xor_b32 s3, s2, -1
	s_delay_alu instid0(VALU_DEP_1) | instskip(SKIP_1) | instid1(SALU_CYCLE_1)
	v_cmp_ne_u32_e32 vcc_lo, 0, v2
	s_and_b32 s3, s3, vcc_lo
	s_and_saveexec_b32 s6, s3
	s_cbranch_execz .LBB4_133
; %bb.112:                              ;   in Loop: Header=BB4_59 Depth=2
	s_and_saveexec_b32 s3, s4
	s_delay_alu instid0(SALU_CYCLE_1)
	s_xor_b32 s3, exec_lo, s3
	s_cbranch_execz .LBB4_130
; %bb.113:                              ;   in Loop: Header=BB4_59 Depth=2
	s_and_saveexec_b32 s20, s1
	s_cbranch_execz .LBB4_129
; %bb.114:                              ;   in Loop: Header=BB4_59 Depth=2
	s_mov_b32 s28, s29
	s_mov_b32 s29, s34
	s_mov_b32 s34, exec_lo
	s_mov_b32 vcc_hi, s31
	v_mbcnt_lo_u32_b32 v2, s34, 0
	s_mov_b32 s31, exec_lo
	s_waitcnt lgkmcnt(0)
	s_waitcnt_vscnt null, 0x0
	buffer_gl1_inv
	buffer_gl0_inv
	v_cmpx_eq_u32_e32 0, v2
	s_cbranch_execz .LBB4_116
; %bb.115:                              ;   in Loop: Header=BB4_59 Depth=2
	s_bcnt1_i32_b32 vcc_lo, s34
	s_delay_alu instid0(SALU_CYCLE_1)
	v_mov_b32_e32 v2, vcc_lo
	ds_add_u64 v0, v[2:3]
	s_cbranch_execnz .LBB4_1550
.LBB4_116:                              ;   in Loop: Header=BB4_59 Depth=2
	s_or_b32 exec_lo, exec_lo, s31
	s_cbranch_execnz .LBB4_1538
; %bb.117:                              ;   in Loop: Header=BB4_59 Depth=2
	ds_load_b64 v[52:53], v0
	v_add_co_u32 v12, vcc_lo, v12, v83
	v_add_co_ci_u32_e32 v13, vcc_lo, 0, v13, vcc_lo
	s_mov_b32 s31, exec_lo
	s_waitcnt lgkmcnt(0)
	s_delay_alu instid0(VALU_DEP_1)
	v_cmpx_lt_u64_e64 v[52:53], v[12:13]
	s_cbranch_execz .LBB4_128
; %bb.118:                              ;   in Loop: Header=BB4_59 Depth=2
	s_mov_b32 s34, 0
	s_mov_b32 s39, 0
                                        ; implicit-def: $sgpr37
                                        ; implicit-def: $sgpr38
	s_branch .LBB4_120
.LBB4_119:                              ;   in Loop: Header=BB4_120 Depth=3
	s_or_b32 exec_lo, exec_lo, s41
	s_delay_alu instid0(SALU_CYCLE_1) | instskip(NEXT) | instid1(SALU_CYCLE_1)
	s_and_b32 vcc_lo, exec_lo, vcc_lo
	s_or_b32 s34, vcc_lo, s34
	s_and_not1_b32 vcc_lo, s37, exec_lo
	s_and_b32 s37, s38, exec_lo
	s_delay_alu instid0(SALU_CYCLE_1)
	s_or_b32 s37, vcc_lo, s37
	s_and_not1_b32 exec_lo, exec_lo, s34
	s_cbranch_execz .LBB4_126
.LBB4_120:                              ;   Parent Loop BB4_51 Depth=1
                                        ;     Parent Loop BB4_59 Depth=2
                                        ; =>    This Inner Loop Header: Depth=3
	s_add_i32 s39, s39, 1
                                        ; implicit-def: $sgpr41
	s_delay_alu instid0(SALU_CYCLE_1) | instskip(SKIP_1) | instid1(SALU_CYCLE_1)
	s_cmpk_lg_i32 s39, 0x2710
	s_cselect_b32 s40, -1, 0
	s_and_b32 vcc_lo, exec_lo, s40
	s_cbranch_vccz .LBB4_124
.LBB4_121:                              ;   in Loop: Header=BB4_120 Depth=3
	s_and_not1_b32 s38, s38, exec_lo
	s_and_b32 s41, s41, exec_lo
	s_mov_b32 vcc_lo, -1
	s_or_b32 s38, s38, s41
	s_and_saveexec_b32 s41, s40
	s_cbranch_execz .LBB4_119
; %bb.122:                              ;   in Loop: Header=BB4_120 Depth=3
	s_sleep 1
	s_cbranch_execnz .LBB4_1592
; %bb.123:                              ;   in Loop: Header=BB4_120 Depth=3
	ds_load_b64 v[52:53], v0
	s_and_not1_b32 s38, s38, exec_lo
	s_waitcnt lgkmcnt(0)
	v_cmp_ge_u64_e32 vcc_lo, v[52:53], v[12:13]
	s_or_not1_b32 vcc_lo, vcc_lo, exec_lo
	s_branch .LBB4_119
.LBB4_124:                              ;   in Loop: Header=BB4_120 Depth=3
	s_cbranch_execnz .LBB4_1610
; %bb.125:                              ;   in Loop: Header=BB4_120 Depth=3
	ds_load_b64 v[52:53], v0
	s_and_not1_b32 s40, s40, exec_lo
	s_mov_b32 s39, 0
	s_mov_b32 s41, -1
	s_waitcnt lgkmcnt(0)
	flat_load_b32 v2, v[52:53] glc
	s_waitcnt vmcnt(0) lgkmcnt(0)
	buffer_gl1_inv
	buffer_gl0_inv
	v_cmp_eq_u32_e32 vcc_lo, 0, v2
	s_and_b32 vcc_lo, vcc_lo, exec_lo
	s_delay_alu instid0(SALU_CYCLE_1)
	s_or_b32 s40, s40, vcc_lo
	s_branch .LBB4_121
.LBB4_126:                              ;   in Loop: Header=BB4_59 Depth=2
	s_or_b32 exec_lo, exec_lo, s34
	s_and_saveexec_b32 vcc_lo, s37
	s_delay_alu instid0(SALU_CYCLE_1)
	s_xor_b32 vcc_lo, exec_lo, vcc_lo
	s_cbranch_execz .LBB4_128
; %bb.127:                              ;   in Loop: Header=BB4_59 Depth=2
	ds_store_b32 v0, v128
	s_cbranch_execnz .LBB4_1824
.LBB4_128:                              ;   in Loop: Header=BB4_59 Depth=2
	s_or_b32 exec_lo, exec_lo, s31
	s_mov_b32 s31, vcc_hi
	s_mov_b32 s34, s29
	s_mov_b32 s29, s28
	;;#ASMSTART
	s_wakeup
	;;#ASMEND
.LBB4_129:                              ;   in Loop: Header=BB4_59 Depth=2
	s_or_b32 exec_lo, exec_lo, s20
.LBB4_130:                              ;   in Loop: Header=BB4_59 Depth=2
	s_and_not1_saveexec_b32 s3, s3
	s_cbranch_execz .LBB4_132
; %bb.131:                              ;   in Loop: Header=BB4_59 Depth=2
	s_waitcnt lgkmcnt(0)
	s_waitcnt_vscnt null, 0x0
	buffer_gl1_inv
	buffer_gl0_inv
	s_barrier
.LBB4_132:                              ;   in Loop: Header=BB4_59 Depth=2
	s_or_b32 exec_lo, exec_lo, s3
.LBB4_133:                              ;   in Loop: Header=BB4_59 Depth=2
	s_delay_alu instid0(SALU_CYCLE_1)
	s_or_b32 exec_lo, exec_lo, s6
	s_cbranch_execnz .LBB4_1481
; %bb.134:                              ;   in Loop: Header=BB4_59 Depth=2
	ds_load_b64 v[52:53], v0
	v_mov_b32_e32 v9, 0
	s_waitcnt lgkmcnt(0)
	v_cmp_eq_u64_e32 vcc_lo, 0, v[52:53]
	s_or_b32 s3, vcc_lo, vcc_lo
	s_delay_alu instid0(SALU_CYCLE_1)
	s_and_b32 vcc_lo, exec_lo, s3
	s_cbranch_vccnz .LBB4_169
; %bb.135:                              ;   in Loop: Header=BB4_59 Depth=2
	s_mov_b32 s6, s13
	s_mov_b32 vcc_hi, s14
	s_mov_b32 s3, -1
	s_and_saveexec_b32 s13, s5
	s_cbranch_execz .LBB4_137
; %bb.136:                              ;   in Loop: Header=BB4_59 Depth=2
	ds_load_b32 v2, v0 offset:720
	s_waitcnt lgkmcnt(0)
	v_and_b32_e32 v2, 15, v2
	s_delay_alu instid0(VALU_DEP_1)
	v_cmp_eq_u32_e32 vcc_lo, 0, v2
	s_or_not1_b32 s3, vcc_lo, exec_lo
.LBB4_137:                              ;   in Loop: Header=BB4_59 Depth=2
	s_or_b32 exec_lo, exec_lo, s13
	s_delay_alu instid0(SALU_CYCLE_1) | instskip(SKIP_1) | instid1(VALU_DEP_1)
	s_mov_b32 s13, exec_lo
	v_readlane_b32 s14, v42, 3
	s_and_b32 s14, s13, s14
	s_delay_alu instid0(SALU_CYCLE_1)
	s_mov_b32 exec_lo, s14
	s_cbranch_execz .LBB4_139
; %bb.138:                              ;   in Loop: Header=BB4_59 Depth=2
	ds_load_b32 v2, v0 offset:784
	s_waitcnt lgkmcnt(0)
	v_and_b32_e32 v2, 15, v2
	s_delay_alu instid0(VALU_DEP_1) | instskip(SKIP_3) | instid1(SALU_CYCLE_1)
	v_cmp_eq_u32_e32 vcc_lo, 0, v2
	s_and_b32 s14, s3, vcc_lo
	s_and_not1_b32 s3, s3, exec_lo
	s_and_b32 s14, s14, exec_lo
	s_or_b32 s3, s3, s14
.LBB4_139:                              ;   in Loop: Header=BB4_59 Depth=2
	s_or_b32 exec_lo, exec_lo, s13
	v_cmp_eq_u32_e32 vcc_lo, 0, v11
	s_xor_b32 s3, s3, -1
	s_mov_b32 s13, -1
	v_cndmask_b32_e64 v2, 0, 1, s3
	;;#ASMSTART
	;;#ASMEND
	v_cndmask_b32_e32 v9, 0, v8, vcc_lo
	s_delay_alu instid0(VALU_DEP_2) | instskip(NEXT) | instid1(VALU_DEP_2)
	v_cmp_ne_u32_e32 vcc_lo, 0, v2
	v_dual_mov_b32 v11, 0 :: v_dual_lshlrev_b32 v2, 3, v9
	s_cbranch_vccz .LBB4_141
; %bb.140:                              ;   in Loop: Header=BB4_59 Depth=2
	v_mov_b32_e32 v54, v0
	v_mov_b32_e32 v68, v84
	s_branch .LBB4_156
.LBB4_141:                              ;   in Loop: Header=BB4_59 Depth=2
	s_delay_alu instid0(VALU_DEP_1) | instskip(SKIP_1) | instid1(VALU_DEP_1)
	v_ashrrev_i32_e32 v11, 31, v2
	s_mov_b32 s3, exec_lo
	v_lshrrev_b32_e32 v11, 21, v11
	s_delay_alu instid0(VALU_DEP_1) | instskip(NEXT) | instid1(VALU_DEP_1)
	v_add_nc_u32_e32 v11, v2, v11
	v_ashrrev_i32_e32 v11, 11, v11
	s_delay_alu instid0(VALU_DEP_1) | instskip(NEXT) | instid1(VALU_DEP_1)
	v_sub_nc_u32_e32 v64, v11, v84
	v_cmpx_lt_i32_e32 0, v64
	s_cbranch_execz .LBB4_146
; %bb.142:                              ;   in Loop: Header=BB4_59 Depth=2
	s_cbranch_execnz .LBB4_1562
; %bb.143:                              ;   in Loop: Header=BB4_59 Depth=2
	ds_load_b64 v[52:53], v0
	s_mov_b32 s14, 0
	s_waitcnt lgkmcnt(0)
	v_dual_mov_b32 v55, v53 :: v_dual_mov_b32 v54, v52
	s_set_inst_prefetch_distance 0x1
.LBB4_144:                              ;   Parent Loop BB4_51 Depth=1
                                        ;     Parent Loop BB4_59 Depth=2
                                        ; =>    This Inner Loop Header: Depth=3
	s_delay_alu instid0(VALU_DEP_1) | instskip(NEXT) | instid1(VALU_DEP_2)
	v_add_co_u32 v133, vcc_lo, v86, v54
	v_add_co_ci_u32_e32 v134, vcc_lo, v96, v55, vcc_lo
	v_sub_nc_u32_e32 v64, v64, v83
	s_clause 0x3
	global_load_b128 v[67:70], v[133:134], off slc dlc
	global_load_b128 v[129:132], v[133:134], off offset:512 slc dlc
	global_load_b128 v[144:147], v[133:134], off offset:1024 slc dlc
	global_load_b128 v[148:151], v[133:134], off offset:1536 slc dlc
	v_add_co_u32 v133, vcc_lo, v86, v52
	v_add_co_ci_u32_e32 v134, vcc_lo, v96, v53, vcc_lo
	v_add_co_u32 v54, vcc_lo, v54, v99
	v_add_co_ci_u32_e32 v55, vcc_lo, v55, v100, vcc_lo
	v_add_co_u32 v52, vcc_lo, v52, v99
	v_cmp_gt_i32_e64 s13, 1, v64
	v_add_co_ci_u32_e32 v53, vcc_lo, v53, v100, vcc_lo
	s_waitcnt vmcnt(3)
	global_store_b128 v[133:134], v[67:70], off glc slc dlc
	s_waitcnt vmcnt(2)
	global_store_b128 v[133:134], v[129:132], off offset:512 glc slc dlc
	s_waitcnt vmcnt(1)
	global_store_b128 v[133:134], v[144:147], off offset:1024 glc slc dlc
	;; [unrolled: 2-line block ×3, first 2 shown]
	s_or_b32 s14, s13, s14
	s_delay_alu instid0(SALU_CYCLE_1)
	s_and_not1_b32 exec_lo, exec_lo, s14
	s_cbranch_execnz .LBB4_144
; %bb.145:                              ;   in Loop: Header=BB4_59 Depth=2
	s_set_inst_prefetch_distance 0x2
	s_or_b32 exec_lo, exec_lo, s14
.LBB4_146:                              ;   in Loop: Header=BB4_59 Depth=2
	s_delay_alu instid0(SALU_CYCLE_1) | instskip(SKIP_4) | instid1(VALU_DEP_2)
	s_or_b32 exec_lo, exec_lo, s3
	v_lshlrev_b32_e32 v55, 11, v11
	v_mov_b32_e32 v11, 0
	s_mov_b32 s13, 0
	s_mov_b32 s3, exec_lo
                                        ; implicit-def: $vgpr54
                                        ; implicit-def: $vgpr68
	v_cmpx_ne_u32_e64 v2, v55
	s_cbranch_execz .LBB4_155
; %bb.147:                              ;   in Loop: Header=BB4_59 Depth=2
	v_lshlrev_b32_e32 v11, 5, v64
	v_sub_nc_u32_e32 v53, v2, v55
	s_mov_b32 s20, exec_lo
	s_delay_alu instid0(VALU_DEP_2) | instskip(NEXT) | instid1(VALU_DEP_2)
	v_sub_nc_u32_e32 v11, v85, v11
	v_ashrrev_i32_e32 v54, 31, v53
	s_delay_alu instid0(VALU_DEP_2) | instskip(NEXT) | instid1(VALU_DEP_2)
	v_ashrrev_i32_e32 v52, 31, v11
	v_lshrrev_b32_e32 v54, 23, v54
	s_delay_alu instid0(VALU_DEP_2) | instskip(NEXT) | instid1(VALU_DEP_2)
	v_lshrrev_b32_e32 v52, 27, v52
	v_add_nc_u32_e32 v54, v53, v54
	s_delay_alu instid0(VALU_DEP_2) | instskip(NEXT) | instid1(VALU_DEP_2)
	v_add_nc_u32_e32 v52, v11, v52
	v_ashrrev_i32_e32 v68, 9, v54
	s_delay_alu instid0(VALU_DEP_2) | instskip(SKIP_1) | instid1(VALU_DEP_2)
	v_and_b32_e32 v64, 0xffffffe0, v52
	v_ashrrev_i32_e32 v52, 5, v52
	v_sub_nc_u32_e32 v65, v11, v64
	v_and_b32_e32 v64, 0xfffffe00, v54
	s_delay_alu instid0(VALU_DEP_2) | instskip(NEXT) | instid1(VALU_DEP_2)
	v_lshlrev_b32_e32 v11, 4, v65
	v_sub_nc_u32_e32 v67, v53, v64
	s_delay_alu instid0(VALU_DEP_2) | instskip(NEXT) | instid1(VALU_DEP_2)
	v_lshl_add_u32 v54, v52, 9, v11
	v_cmp_lt_i32_e32 vcc_lo, 15, v67
	s_delay_alu instid0(VALU_DEP_2) | instskip(SKIP_1) | instid1(VALU_DEP_1)
	v_sub_nc_u32_e32 v11, v53, v54
	v_add_co_ci_u32_e64 v68, s13, 0, v68, vcc_lo
	v_sub_nc_u32_e32 v69, v68, v52
	s_delay_alu instid0(VALU_DEP_3)
	v_cmpx_lt_i32_e32 15, v11
	s_cbranch_execz .LBB4_152
; %bb.148:                              ;   in Loop: Header=BB4_59 Depth=2
	s_cbranch_execnz .LBB4_1628
; %bb.149:                              ;   in Loop: Header=BB4_59 Depth=2
	ds_load_b64 v[52:53], v0
	v_add_nc_u32_e32 v54, v54, v55
	s_mov_b32 s28, 0
	s_delay_alu instid0(VALU_DEP_1)
	v_ashrrev_i32_e32 v68, 31, v54
.LBB4_150:                              ;   Parent Loop BB4_51 Depth=1
                                        ;     Parent Loop BB4_59 Depth=2
                                        ; =>    This Inner Loop Header: Depth=3
	s_waitcnt lgkmcnt(0)
	v_add_co_u32 v70, s13, v52, v54
	s_delay_alu instid0(VALU_DEP_1)
	v_add_co_ci_u32_e64 v71, s13, v53, v68, s13
	v_sub_nc_u32_e32 v11, v11, v87
	v_add_co_u32 v54, s14, v54, v103
	global_load_b128 v[129:132], v[70:71], off slc dlc
	v_sub_nc_u32_e32 v69, v69, v83
	v_cmp_gt_i32_e64 s13, 16, v11
	v_add_co_ci_u32_e64 v68, s14, v68, v112, s14
	s_delay_alu instid0(VALU_DEP_2)
	s_or_b32 s28, s13, s28
	s_waitcnt vmcnt(0)
	global_store_b128 v[70:71], v[129:132], off glc slc dlc
	s_and_not1_b32 exec_lo, exec_lo, s28
	s_cbranch_execnz .LBB4_150
; %bb.151:                              ;   in Loop: Header=BB4_59 Depth=2
	s_or_b32 exec_lo, exec_lo, s28
.LBB4_152:                              ;   in Loop: Header=BB4_59 Depth=2
	s_delay_alu instid0(SALU_CYCLE_1) | instskip(SKIP_3) | instid1(VALU_DEP_1)
	s_or_b32 exec_lo, exec_lo, s20
	v_dual_mov_b32 v11, 0 :: v_dual_and_b32 v52, 8, v2
	s_mov_b32 s14, 0
	s_mov_b32 s20, exec_lo
                                        ; implicit-def: $vgpr54
                                        ; implicit-def: $vgpr68
	v_cndmask_b32_e32 v2, v67, v52, vcc_lo
	s_delay_alu instid0(VALU_DEP_1)
	v_cmpx_ne_u32_e32 0, v2
; %bb.153:                              ;   in Loop: Header=BB4_59 Depth=2
	v_cmp_lt_i32_e64 s13, 0, v69
	v_sub_nc_u32_e32 v52, v67, v52
	s_mov_b32 s14, exec_lo
	s_delay_alu instid0(VALU_DEP_2) | instskip(NEXT) | instid1(VALU_DEP_1)
	v_cndmask_b32_e64 v11, 0, v83, s13
	v_sub_nc_u32_e32 v11, v11, v69
	s_delay_alu instid0(VALU_DEP_1) | instskip(NEXT) | instid1(VALU_DEP_1)
	v_lshl_add_u32 v54, v11, 5, v65
	v_ashrrev_i32_e32 v11, 31, v54
	s_delay_alu instid0(VALU_DEP_1) | instskip(NEXT) | instid1(VALU_DEP_1)
	v_lshrrev_b32_e32 v11, 27, v11
	v_dual_cndmask_b32 v52, 0, v52 :: v_dual_add_nc_u32 v53, v54, v11
	s_delay_alu instid0(VALU_DEP_1) | instskip(NEXT) | instid1(VALU_DEP_2)
	v_add3_u32 v11, v64, v55, v52
	v_ashrrev_i32_e32 v68, 5, v53
; %bb.154:                              ;   in Loop: Header=BB4_59 Depth=2
	s_or_b32 exec_lo, exec_lo, s20
	s_delay_alu instid0(SALU_CYCLE_1)
	s_and_b32 s13, s14, exec_lo
.LBB4_155:                              ;   in Loop: Header=BB4_59 Depth=2
	s_or_b32 exec_lo, exec_lo, s3
.LBB4_156:                              ;   in Loop: Header=BB4_59 Depth=2
	s_and_saveexec_b32 s3, s13
	s_cbranch_execz .LBB4_168
; %bb.157:                              ;   in Loop: Header=BB4_59 Depth=2
	v_ashrrev_i32_e32 v52, 31, v2
	s_mov_b32 s14, exec_lo
	s_delay_alu instid0(VALU_DEP_1) | instskip(NEXT) | instid1(VALU_DEP_1)
	v_lshrrev_b32_e32 v52, 23, v52
	v_add_nc_u32_e32 v52, v2, v52
	s_delay_alu instid0(VALU_DEP_1) | instskip(NEXT) | instid1(VALU_DEP_1)
	v_ashrrev_i32_e32 v64, 9, v52
	v_sub_nc_u32_e32 v55, v64, v68
	s_delay_alu instid0(VALU_DEP_1)
	v_cmpx_lt_i32_e32 0, v55
	s_cbranch_execz .LBB4_162
; %bb.158:                              ;   in Loop: Header=BB4_59 Depth=2
	s_cbranch_execnz .LBB4_1556
; %bb.159:                              ;   in Loop: Header=BB4_59 Depth=2
	v_ashrrev_i32_e32 v52, 31, v54
	v_lshlrev_b32_e32 v67, 9, v68
	s_mov_b32 s20, 0
	s_delay_alu instid0(VALU_DEP_2) | instskip(NEXT) | instid1(VALU_DEP_1)
	v_lshrrev_b32_e32 v52, 27, v52
	v_add_nc_u32_e32 v52, v54, v52
	s_delay_alu instid0(VALU_DEP_1) | instskip(NEXT) | instid1(VALU_DEP_1)
	v_and_b32_e32 v52, 0x1fffffe0, v52
	v_sub_nc_u32_e32 v65, v54, v52
	ds_load_b64 v[52:53], v0
	v_lshlrev_b32_e32 v65, 3, v65
	s_delay_alu instid0(VALU_DEP_1) | instskip(NEXT) | instid1(VALU_DEP_1)
	v_add3_u32 v65, v65, v11, v67
	v_ashrrev_i32_e32 v67, 31, v65
.LBB4_160:                              ;   Parent Loop BB4_51 Depth=1
                                        ;     Parent Loop BB4_59 Depth=2
                                        ; =>    This Inner Loop Header: Depth=3
	s_waitcnt lgkmcnt(0)
	v_add_co_u32 v68, vcc_lo, v52, v65
	s_delay_alu instid0(VALU_DEP_2)
	v_add_co_ci_u32_e32 v69, vcc_lo, v53, v67, vcc_lo
	v_sub_nc_u32_e32 v55, v55, v83
	v_add_co_u32 v65, s13, v65, v103
	s_clause 0x1
	flat_load_b64 v[70:71], v[68:69] slc dlc
	flat_load_b64 v[129:130], v[68:69] offset:256 slc dlc
	v_add_co_ci_u32_e64 v67, s13, v67, v112, s13
	v_cmp_gt_i32_e32 vcc_lo, 1, v55
	s_waitcnt vmcnt(1) lgkmcnt(1)
	flat_store_b64 v[68:69], v[70:71] glc slc dlc
	s_waitcnt vmcnt(0) lgkmcnt(1)
	flat_store_b64 v[68:69], v[129:130] offset:256 glc slc dlc
	s_or_b32 s20, vcc_lo, s20
	s_delay_alu instid0(SALU_CYCLE_1)
	s_and_not1_b32 exec_lo, exec_lo, s20
	s_cbranch_execnz .LBB4_160
; %bb.161:                              ;   in Loop: Header=BB4_59 Depth=2
	s_or_b32 exec_lo, exec_lo, s20
.LBB4_162:                              ;   in Loop: Header=BB4_59 Depth=2
	s_delay_alu instid0(SALU_CYCLE_1) | instskip(SKIP_2) | instid1(VALU_DEP_1)
	s_or_b32 exec_lo, exec_lo, s14
	v_lshlrev_b32_e32 v52, 9, v64
	s_mov_b32 s14, exec_lo
	v_cmpx_ne_u32_e64 v2, v52
	s_cbranch_execz .LBB4_167
; %bb.163:                              ;   in Loop: Header=BB4_59 Depth=2
	v_ashrrev_i32_e32 v53, 31, v54
	s_delay_alu instid0(VALU_DEP_1) | instskip(NEXT) | instid1(VALU_DEP_1)
	v_lshrrev_b32_e32 v53, 27, v53
	v_add_nc_u32_e32 v53, v54, v53
	s_delay_alu instid0(VALU_DEP_1) | instskip(NEXT) | instid1(VALU_DEP_1)
	v_and_b32_e32 v53, 0xffffffe0, v53
	v_sub_nc_u32_e32 v53, v54, v53
	v_lshlrev_b32_e32 v54, 5, v55
	s_delay_alu instid0(VALU_DEP_1) | instskip(NEXT) | instid1(VALU_DEP_1)
	v_sub_nc_u32_e32 v53, v53, v54
	v_ashrrev_i32_e32 v54, 31, v53
	s_delay_alu instid0(VALU_DEP_1) | instskip(NEXT) | instid1(VALU_DEP_1)
	v_lshrrev_b32_e32 v54, 27, v54
	v_add_nc_u32_e32 v54, v53, v54
	s_delay_alu instid0(VALU_DEP_1) | instskip(SKIP_1) | instid1(VALU_DEP_2)
	v_and_b32_e32 v55, 0x1fffffe0, v54
	v_lshlrev_b32_e32 v54, 3, v54
	v_sub_nc_u32_e32 v53, v53, v55
	s_delay_alu instid0(VALU_DEP_2) | instskip(NEXT) | instid1(VALU_DEP_2)
	v_and_b32_e32 v54, 0xffffff00, v54
	v_lshlrev_b32_e32 v53, 3, v53
	s_delay_alu instid0(VALU_DEP_1) | instskip(NEXT) | instid1(VALU_DEP_1)
	v_add3_u32 v54, v54, v53, v52
	v_sub_nc_u32_e32 v2, v2, v54
	s_delay_alu instid0(VALU_DEP_1)
	v_cmp_lt_i32_e32 vcc_lo, 7, v2
	s_and_b32 exec_lo, exec_lo, vcc_lo
	s_cbranch_execz .LBB4_167
; %bb.164:                              ;   in Loop: Header=BB4_59 Depth=2
	s_cbranch_execnz .LBB4_1620
; %bb.165:                              ;   in Loop: Header=BB4_59 Depth=2
	ds_load_b64 v[52:53], v0
	v_add_nc_u32_e32 v11, v54, v11
	s_mov_b32 s20, 0
	s_delay_alu instid0(VALU_DEP_1)
	v_ashrrev_i32_e32 v54, 31, v11
.LBB4_166:                              ;   Parent Loop BB4_51 Depth=1
                                        ;     Parent Loop BB4_59 Depth=2
                                        ; =>    This Inner Loop Header: Depth=3
	s_waitcnt lgkmcnt(0)
	v_add_co_u32 v64, vcc_lo, v52, v11
	s_delay_alu instid0(VALU_DEP_2)
	v_add_co_ci_u32_e32 v65, vcc_lo, v53, v54, vcc_lo
	v_sub_nc_u32_e32 v2, v2, v98
	v_add_co_u32 v11, s13, v11, v114
	flat_load_b64 v[67:68], v[64:65] slc dlc
	v_add_co_ci_u32_e64 v54, s13, v54, v115, s13
	v_cmp_gt_i32_e32 vcc_lo, 8, v2
	s_or_b32 s20, vcc_lo, s20
	s_waitcnt vmcnt(0) lgkmcnt(0)
	flat_store_b64 v[64:65], v[67:68] glc slc dlc
	s_and_not1_b32 exec_lo, exec_lo, s20
	s_cbranch_execnz .LBB4_166
.LBB4_167:                              ;   in Loop: Header=BB4_59 Depth=2
	s_or_b32 exec_lo, exec_lo, s14
.LBB4_168:                              ;   in Loop: Header=BB4_59 Depth=2
	s_delay_alu instid0(SALU_CYCLE_1)
	s_or_b32 exec_lo, exec_lo, s3
	s_mov_b32 s14, vcc_hi
	s_mov_b32 s13, s6
.LBB4_169:                              ;   in Loop: Header=BB4_59 Depth=2
	s_and_saveexec_b32 s6, s36
	s_cbranch_execz .LBB4_191
; %bb.170:                              ;   in Loop: Header=BB4_59 Depth=2
	s_mov_b32 vcc_hi, s34
	s_mov_b32 s3, s4
	s_and_saveexec_b32 s20, s4
	s_delay_alu instid0(SALU_CYCLE_1)
	s_xor_b32 s4, exec_lo, s20
	s_cbranch_execz .LBB4_188
; %bb.171:                              ;   in Loop: Header=BB4_59 Depth=2
	s_mov_b32 s20, s1
	s_and_saveexec_b32 s28, s1
	s_cbranch_execz .LBB4_187
; %bb.172:                              ;   in Loop: Header=BB4_59 Depth=2
	s_mov_b32 s34, exec_lo
	s_mov_b32 s1, exec_lo
	v_mbcnt_lo_u32_b32 v2, s34, 0
	s_waitcnt lgkmcnt(0)
	s_waitcnt_vscnt null, 0x0
	buffer_gl1_inv
	buffer_gl0_inv
	v_cmpx_eq_u32_e32 0, v2
	s_cbranch_execz .LBB4_174
; %bb.173:                              ;   in Loop: Header=BB4_59 Depth=2
	s_bcnt1_i32_b32 vcc_lo, s34
	s_delay_alu instid0(SALU_CYCLE_1)
	v_mov_b32_e32 v2, vcc_lo
	ds_add_u64 v0, v[2:3]
	s_cbranch_execnz .LBB4_1594
.LBB4_174:                              ;   in Loop: Header=BB4_59 Depth=2
	s_or_b32 exec_lo, exec_lo, s1
	s_cbranch_execnz .LBB4_1570
; %bb.175:                              ;   in Loop: Header=BB4_59 Depth=2
	ds_load_b64 v[52:53], v0
	v_add_co_u32 v12, vcc_lo, v12, v83
	v_add_co_ci_u32_e32 v13, vcc_lo, 0, v13, vcc_lo
	s_mov_b32 s1, exec_lo
	s_waitcnt lgkmcnt(0)
	s_delay_alu instid0(VALU_DEP_1)
	v_cmpx_lt_u64_e64 v[52:53], v[12:13]
	s_cbranch_execz .LBB4_186
; %bb.176:                              ;   in Loop: Header=BB4_59 Depth=2
	s_mov_b32 s34, 0
	s_mov_b32 s39, 0
                                        ; implicit-def: $sgpr37
                                        ; implicit-def: $sgpr38
	s_branch .LBB4_178
.LBB4_177:                              ;   in Loop: Header=BB4_178 Depth=3
	s_or_b32 exec_lo, exec_lo, s41
	s_delay_alu instid0(SALU_CYCLE_1) | instskip(NEXT) | instid1(SALU_CYCLE_1)
	s_and_b32 vcc_lo, exec_lo, vcc_lo
	s_or_b32 s34, vcc_lo, s34
	s_and_not1_b32 vcc_lo, s37, exec_lo
	s_and_b32 s37, s38, exec_lo
	s_delay_alu instid0(SALU_CYCLE_1)
	s_or_b32 s37, vcc_lo, s37
	s_and_not1_b32 exec_lo, exec_lo, s34
	s_cbranch_execz .LBB4_184
.LBB4_178:                              ;   Parent Loop BB4_51 Depth=1
                                        ;     Parent Loop BB4_59 Depth=2
                                        ; =>    This Inner Loop Header: Depth=3
	s_add_i32 s39, s39, 1
                                        ; implicit-def: $sgpr41
	s_delay_alu instid0(SALU_CYCLE_1) | instskip(SKIP_1) | instid1(SALU_CYCLE_1)
	s_cmpk_lg_i32 s39, 0x2710
	s_cselect_b32 s40, -1, 0
	s_and_b32 vcc_lo, exec_lo, s40
	s_cbranch_vccz .LBB4_182
.LBB4_179:                              ;   in Loop: Header=BB4_178 Depth=3
	s_and_not1_b32 s38, s38, exec_lo
	s_and_b32 s41, s41, exec_lo
	s_mov_b32 vcc_lo, -1
	s_or_b32 s38, s38, s41
	s_and_saveexec_b32 s41, s40
	s_cbranch_execz .LBB4_177
; %bb.180:                              ;   in Loop: Header=BB4_178 Depth=3
	s_sleep 1
	s_cbranch_execnz .LBB4_1646
; %bb.181:                              ;   in Loop: Header=BB4_178 Depth=3
	ds_load_b64 v[52:53], v0
	s_and_not1_b32 s38, s38, exec_lo
	s_waitcnt lgkmcnt(0)
	v_cmp_ge_u64_e32 vcc_lo, v[52:53], v[12:13]
	s_or_not1_b32 vcc_lo, vcc_lo, exec_lo
	s_branch .LBB4_177
.LBB4_182:                              ;   in Loop: Header=BB4_178 Depth=3
	s_cbranch_execnz .LBB4_1656
; %bb.183:                              ;   in Loop: Header=BB4_178 Depth=3
	ds_load_b64 v[52:53], v0
	s_and_not1_b32 s40, s40, exec_lo
	s_mov_b32 s39, 0
	s_mov_b32 s41, -1
	s_waitcnt lgkmcnt(0)
	flat_load_b32 v2, v[52:53] glc
	s_waitcnt vmcnt(0) lgkmcnt(0)
	buffer_gl1_inv
	buffer_gl0_inv
	v_cmp_eq_u32_e32 vcc_lo, 0, v2
	s_and_b32 vcc_lo, vcc_lo, exec_lo
	s_delay_alu instid0(SALU_CYCLE_1)
	s_or_b32 s40, s40, vcc_lo
	s_branch .LBB4_179
.LBB4_184:                              ;   in Loop: Header=BB4_59 Depth=2
	s_or_b32 exec_lo, exec_lo, s34
	s_and_saveexec_b32 vcc_lo, s37
	s_delay_alu instid0(SALU_CYCLE_1)
	s_xor_b32 vcc_lo, exec_lo, vcc_lo
	s_cbranch_execz .LBB4_186
; %bb.185:                              ;   in Loop: Header=BB4_59 Depth=2
	ds_store_b32 v0, v128
	s_cbranch_execnz .LBB4_1870
.LBB4_186:                              ;   in Loop: Header=BB4_59 Depth=2
	s_or_b32 exec_lo, exec_lo, s1
	;;#ASMSTART
	s_wakeup
	;;#ASMEND
.LBB4_187:                              ;   in Loop: Header=BB4_59 Depth=2
	s_or_b32 exec_lo, exec_lo, s28
	s_mov_b32 s1, s20
.LBB4_188:                              ;   in Loop: Header=BB4_59 Depth=2
	s_and_not1_saveexec_b32 s4, s4
	s_cbranch_execz .LBB4_190
; %bb.189:                              ;   in Loop: Header=BB4_59 Depth=2
	s_waitcnt lgkmcnt(0)
	s_waitcnt_vscnt null, 0x0
	buffer_gl1_inv
	buffer_gl0_inv
	s_barrier
.LBB4_190:                              ;   in Loop: Header=BB4_59 Depth=2
	s_or_b32 exec_lo, exec_lo, s4
	s_mov_b32 s34, vcc_hi
	s_mov_b32 s4, s3
.LBB4_191:                              ;   in Loop: Header=BB4_59 Depth=2
	s_or_b32 exec_lo, exec_lo, s6
                                        ; implicit-def: $vgpr2
	s_and_saveexec_b32 s3, s7
	s_delay_alu instid0(SALU_CYCLE_1)
	s_xor_b32 s3, exec_lo, s3
	s_cbranch_execz .LBB4_195
; %bb.192:                              ;   in Loop: Header=BB4_59 Depth=2
	v_and_b32_e32 v2, 16, v30
	s_mov_b32 s6, s13
	v_cmp_lt_i32_e32 vcc_lo, 0, v9
	s_delay_alu instid0(VALU_DEP_2) | instskip(SKIP_1) | instid1(VALU_DEP_2)
	v_cmp_ne_u32_e64 s13, 0, v2
	v_and_b32_e32 v2, 16, v30
	s_and_b32 s20, s13, vcc_lo
	s_delay_alu instid0(SALU_CYCLE_1)
	s_and_saveexec_b32 s13, s20
	s_cbranch_execz .LBB4_194
; %bb.193:                              ;   in Loop: Header=BB4_59 Depth=2
	v_mov_b32_e32 v2, 1
	s_waitcnt lgkmcnt(0)
	s_waitcnt_vscnt null, 0x0
	buffer_gl1_inv
	buffer_gl0_inv
.LBB4_194:                              ;   in Loop: Header=BB4_59 Depth=2
	s_or_b32 exec_lo, exec_lo, s13
	s_mov_b32 s13, s6
.LBB4_195:                              ;   in Loop: Header=BB4_59 Depth=2
	s_and_not1_saveexec_b32 s6, s3
	s_cbranch_execz .LBB4_217
; %bb.196:                              ;   in Loop: Header=BB4_59 Depth=2
	s_mov_b32 vcc_hi, s34
	s_mov_b32 s3, s4
	s_and_saveexec_b32 s20, s4
	s_delay_alu instid0(SALU_CYCLE_1)
	s_xor_b32 s4, exec_lo, s20
	s_cbranch_execz .LBB4_214
; %bb.197:                              ;   in Loop: Header=BB4_59 Depth=2
	s_and_saveexec_b32 s20, s1
	s_cbranch_execz .LBB4_213
; %bb.198:                              ;   in Loop: Header=BB4_59 Depth=2
	s_mov_b32 s34, exec_lo
	s_mov_b32 s28, exec_lo
	v_mbcnt_lo_u32_b32 v2, s34, 0
	;;#ASMSTART
	s_waitcnt lgkmcnt(0) vmcnt(0)
	;;#ASMEND
	s_delay_alu instid0(VALU_DEP_1)
	v_cmpx_eq_u32_e32 0, v2
	s_cbranch_execz .LBB4_200
; %bb.199:                              ;   in Loop: Header=BB4_59 Depth=2
	s_bcnt1_i32_b32 vcc_lo, s34
	s_delay_alu instid0(SALU_CYCLE_1)
	v_mov_b32_e32 v2, vcc_lo
	ds_add_u64 v0, v[2:3]
	s_cbranch_execnz .LBB4_1602
.LBB4_200:                              ;   in Loop: Header=BB4_59 Depth=2
	s_or_b32 exec_lo, exec_lo, s28
	s_cbranch_execnz .LBB4_1576
; %bb.201:                              ;   in Loop: Header=BB4_59 Depth=2
	ds_load_b64 v[52:53], v0
	v_add_co_u32 v12, vcc_lo, v12, v83
	v_add_co_ci_u32_e32 v13, vcc_lo, 0, v13, vcc_lo
	s_mov_b32 s28, exec_lo
	s_waitcnt lgkmcnt(0)
	s_delay_alu instid0(VALU_DEP_1)
	v_cmpx_lt_u64_e64 v[52:53], v[12:13]
	s_cbranch_execz .LBB4_212
; %bb.202:                              ;   in Loop: Header=BB4_59 Depth=2
	s_mov_b32 s34, 0
	s_mov_b32 s39, 0
                                        ; implicit-def: $sgpr37
                                        ; implicit-def: $sgpr38
	s_branch .LBB4_204
.LBB4_203:                              ;   in Loop: Header=BB4_204 Depth=3
	s_or_b32 exec_lo, exec_lo, s41
	s_delay_alu instid0(SALU_CYCLE_1) | instskip(NEXT) | instid1(SALU_CYCLE_1)
	s_and_b32 vcc_lo, exec_lo, vcc_lo
	s_or_b32 s34, vcc_lo, s34
	s_and_not1_b32 vcc_lo, s37, exec_lo
	s_and_b32 s37, s38, exec_lo
	s_delay_alu instid0(SALU_CYCLE_1)
	s_or_b32 s37, vcc_lo, s37
	s_and_not1_b32 exec_lo, exec_lo, s34
	s_cbranch_execz .LBB4_210
.LBB4_204:                              ;   Parent Loop BB4_51 Depth=1
                                        ;     Parent Loop BB4_59 Depth=2
                                        ; =>    This Inner Loop Header: Depth=3
	s_add_i32 s39, s39, 1
                                        ; implicit-def: $sgpr41
	s_delay_alu instid0(SALU_CYCLE_1) | instskip(SKIP_1) | instid1(SALU_CYCLE_1)
	s_cmpk_lg_i32 s39, 0x2710
	s_cselect_b32 s40, -1, 0
	s_and_b32 vcc_lo, exec_lo, s40
	s_cbranch_vccz .LBB4_208
.LBB4_205:                              ;   in Loop: Header=BB4_204 Depth=3
	s_and_not1_b32 s38, s38, exec_lo
	s_and_b32 s41, s41, exec_lo
	s_mov_b32 vcc_lo, -1
	s_or_b32 s38, s38, s41
	s_and_saveexec_b32 s41, s40
	s_cbranch_execz .LBB4_203
; %bb.206:                              ;   in Loop: Header=BB4_204 Depth=3
	s_sleep 1
	s_cbranch_execnz .LBB4_1650
; %bb.207:                              ;   in Loop: Header=BB4_204 Depth=3
	ds_load_b64 v[52:53], v0
	s_and_not1_b32 s38, s38, exec_lo
	s_waitcnt lgkmcnt(0)
	v_cmp_ge_u64_e32 vcc_lo, v[52:53], v[12:13]
	s_or_not1_b32 vcc_lo, vcc_lo, exec_lo
	s_branch .LBB4_203
.LBB4_208:                              ;   in Loop: Header=BB4_204 Depth=3
	s_cbranch_execnz .LBB4_1668
; %bb.209:                              ;   in Loop: Header=BB4_204 Depth=3
	ds_load_b64 v[52:53], v0
	s_and_not1_b32 s40, s40, exec_lo
	s_mov_b32 s39, 0
	s_mov_b32 s41, -1
	s_waitcnt lgkmcnt(0)
	s_waitcnt_vscnt null, 0x0
	flat_load_b32 v2, v[52:53] glc
	s_waitcnt vmcnt(0) lgkmcnt(0)
	buffer_gl1_inv
	buffer_gl0_inv
	v_cmp_eq_u32_e32 vcc_lo, 0, v2
	s_and_b32 vcc_lo, vcc_lo, exec_lo
	s_delay_alu instid0(SALU_CYCLE_1)
	s_or_b32 s40, s40, vcc_lo
	s_branch .LBB4_205
.LBB4_210:                              ;   in Loop: Header=BB4_59 Depth=2
	s_or_b32 exec_lo, exec_lo, s34
	s_and_saveexec_b32 vcc_lo, s37
	s_delay_alu instid0(SALU_CYCLE_1)
	s_xor_b32 vcc_lo, exec_lo, vcc_lo
	s_cbranch_execz .LBB4_212
; %bb.211:                              ;   in Loop: Header=BB4_59 Depth=2
	ds_store_b32 v0, v128
	s_cbranch_execnz .LBB4_1874
.LBB4_212:                              ;   in Loop: Header=BB4_59 Depth=2
	s_or_b32 exec_lo, exec_lo, s28
	;;#ASMSTART
	s_wakeup
	;;#ASMEND
.LBB4_213:                              ;   in Loop: Header=BB4_59 Depth=2
	s_or_b32 exec_lo, exec_lo, s20
.LBB4_214:                              ;   in Loop: Header=BB4_59 Depth=2
	s_and_not1_saveexec_b32 s4, s4
	s_cbranch_execz .LBB4_216
; %bb.215:                              ;   in Loop: Header=BB4_59 Depth=2
	;;#ASMSTART
	s_waitcnt lgkmcnt(0) vmcnt(0)
	;;#ASMEND
	s_waitcnt lgkmcnt(0)
	s_waitcnt_vscnt null, 0x0
	s_barrier
.LBB4_216:                              ;   in Loop: Header=BB4_59 Depth=2
	s_or_b32 exec_lo, exec_lo, s4
	v_and_b32_e32 v2, 16, v30
	s_mov_b32 s34, vcc_hi
	s_mov_b32 s4, s3
.LBB4_217:                              ;   in Loop: Header=BB4_59 Depth=2
	s_or_b32 exec_lo, exec_lo, s6
	s_delay_alu instid0(SALU_CYCLE_1)
	s_mov_b32 s3, exec_lo
	v_cmpx_ne_u32_e32 0, v2
	s_cbranch_execz .LBB4_221
; %bb.218:                              ;   in Loop: Header=BB4_59 Depth=2
	s_and_saveexec_b32 s6, s11
	s_cbranch_execz .LBB4_220
; %bb.219:                              ;   in Loop: Header=BB4_59 Depth=2
	s_waitcnt lgkmcnt(0)
	s_waitcnt_vscnt null, 0x0
	flat_store_b32 v[26:27], v128
.LBB4_220:                              ;   in Loop: Header=BB4_59 Depth=2
	s_or_b32 exec_lo, exec_lo, s6
	v_add_co_u32 v22, vcc_lo, v22, 2
	v_add_co_ci_u32_e32 v23, vcc_lo, 0, v23, vcc_lo
	s_waitcnt lgkmcnt(0)
	s_waitcnt_vscnt null, 0x0
	flat_store_b64 v[20:21], v[22:23]
.LBB4_221:                              ;   in Loop: Header=BB4_59 Depth=2
	s_or_b32 exec_lo, exec_lo, s3
	v_add_nc_u32_e32 v10, v8, v10
	s_xor_b32 s3, s17, -1
	v_mov_b32_e32 v2, s30
	s_mov_b32 s17, 0
	s_mov_b32 s30, 2
	v_cmp_ge_i32_e32 vcc_lo, v10, v66
	s_or_b32 s3, s3, vcc_lo
	s_delay_alu instid0(SALU_CYCLE_1) | instskip(NEXT) | instid1(SALU_CYCLE_1)
	s_and_b32 s3, exec_lo, s3
	s_or_b32 s16, s3, s16
	s_delay_alu instid0(SALU_CYCLE_1)
	s_and_not1_b32 exec_lo, exec_lo, s16
	s_cbranch_execnz .LBB4_59
; %bb.222:                              ;   in Loop: Header=BB4_51 Depth=1
	s_or_b32 exec_lo, exec_lo, s16
.LBB4_223:                              ;   in Loop: Header=BB4_51 Depth=1
	s_delay_alu instid0(SALU_CYCLE_1) | instskip(NEXT) | instid1(SALU_CYCLE_1)
	s_or_b32 exec_lo, exec_lo, s15
	s_mov_b32 s15, exec_lo
	v_cmpx_gt_i32_e32 2, v2
	s_cbranch_execz .LBB4_306
; %bb.224:                              ;   in Loop: Header=BB4_51 Depth=1
	v_cmp_eq_u32_e64 s6, 0, v2
	s_mov_b32 s16, 0
.LBB4_225:                              ;   Parent Loop BB4_51 Depth=1
                                        ; =>  This Loop Header: Depth=2
                                        ;       Child Loop BB4_231 Depth 3
                                        ;       Child Loop BB4_260 Depth 3
	;; [unrolled: 1-line block ×3, first 2 shown]
	v_and_b32_e32 v2, 8, v30
	s_mov_b32 s17, -1
	s_mov_b32 s3, exec_lo
	s_delay_alu instid0(VALU_DEP_1)
	v_cmpx_ne_u32_e32 0, v2
	s_cbranch_execz .LBB4_239
; %bb.226:                              ;   in Loop: Header=BB4_225 Depth=2
	v_add_co_u32 v52, vcc_lo, v28, 8
	v_add_co_ci_u32_e32 v53, vcc_lo, 0, v29, vcc_lo
	v_add_co_u32 v50, vcc_lo, v22, 2
	v_add_co_ci_u32_e32 v51, vcc_lo, 0, v23, vcc_lo
	v_mov_b32_e32 v2, 1
	s_mov_b32 s17, exec_lo
	s_delay_alu instid0(VALU_DEP_2)
	v_cmpx_lt_u64_e64 v[52:53], v[50:51]
	s_cbranch_execz .LBB4_238
; %bb.227:                              ;   in Loop: Header=BB4_225 Depth=2
	v_mov_b32_e32 v2, 0
	s_mov_b32 s20, 0
                                        ; implicit-def: $sgpr28
	s_branch .LBB4_231
.LBB4_228:                              ;   in Loop: Header=BB4_231 Depth=3
	s_or_b32 exec_lo, exec_lo, s38
	v_mov_b32_e32 v9, 0
	s_or_not1_b32 s37, s37, exec_lo
.LBB4_229:                              ;   in Loop: Header=BB4_231 Depth=3
	s_or_b32 exec_lo, exec_lo, s30
	s_delay_alu instid0(VALU_DEP_1) | instskip(SKIP_2) | instid1(SALU_CYCLE_1)
	v_mov_b32_e32 v2, v9
	s_and_not1_b32 s28, s28, exec_lo
	s_and_b32 vcc_lo, s37, exec_lo
	s_or_b32 s28, s28, vcc_lo
.LBB4_230:                              ;   in Loop: Header=BB4_231 Depth=3
	s_or_b32 exec_lo, exec_lo, vcc_hi
	s_waitcnt vmcnt(0) lgkmcnt(0)
	v_add_co_u32 v52, vcc_lo, v28, 8
	v_add_co_ci_u32_e32 v53, vcc_lo, 0, v29, vcc_lo
	s_delay_alu instid0(VALU_DEP_1) | instskip(SKIP_1) | instid1(SALU_CYCLE_1)
	v_cmp_ge_u64_e32 vcc_lo, v[52:53], v[50:51]
	s_xor_b32 vcc_hi, s28, -1
	s_or_b32 vcc_lo, vcc_hi, vcc_lo
	s_delay_alu instid0(SALU_CYCLE_1) | instskip(NEXT) | instid1(SALU_CYCLE_1)
	s_and_b32 vcc_lo, exec_lo, vcc_lo
	s_or_b32 s20, vcc_lo, s20
	s_delay_alu instid0(SALU_CYCLE_1)
	s_and_not1_b32 exec_lo, exec_lo, s20
	s_cbranch_execz .LBB4_237
.LBB4_231:                              ;   Parent Loop BB4_51 Depth=1
                                        ;     Parent Loop BB4_225 Depth=2
                                        ; =>    This Inner Loop Header: Depth=3
	s_sleep 1
	flat_load_b64 v[28:29], v[20:21] glc
	v_and_b32_e32 v9, 64, v30
	s_and_not1_b32 s28, s28, exec_lo
	s_mov_b32 vcc_hi, exec_lo
	s_delay_alu instid0(VALU_DEP_1)
	v_cmpx_eq_u32_e32 0, v9
	s_cbranch_execz .LBB4_230
; %bb.232:                              ;   in Loop: Header=BB4_231 Depth=3
	v_add_nc_u32_e32 v9, 1, v2
	s_mov_b32 s37, -1
	s_mov_b32 s30, exec_lo
	v_cmpx_lt_i32_e32 0x270e, v2
	s_cbranch_execz .LBB4_229
; %bb.233:                              ;   in Loop: Header=BB4_231 Depth=3
	s_cbranch_execnz .LBB4_1475
; %bb.234:                              ;   in Loop: Header=BB4_231 Depth=3
	ds_load_b64 v[52:53], v0
	s_mov_b32 s38, exec_lo
	s_waitcnt vmcnt(0) lgkmcnt(0)
	s_waitcnt_vscnt null, 0x0
	flat_load_b32 v2, v[52:53] glc
	s_waitcnt vmcnt(0) lgkmcnt(0)
	buffer_gl1_inv
	buffer_gl0_inv
	v_cmpx_ne_u32_e32 0, v2
	s_cbranch_execz .LBB4_228
; %bb.235:                              ;   in Loop: Header=BB4_231 Depth=3
	ds_store_b32 v0, v2
	s_cbranch_execnz .LBB4_1487
; %bb.236:                              ;   in Loop: Header=BB4_231 Depth=3
	v_or_b32_e32 v30, 64, v30
	s_xor_b32 s37, exec_lo, -1
	s_branch .LBB4_228
.LBB4_237:                              ;   in Loop: Header=BB4_225 Depth=2
	s_or_b32 exec_lo, exec_lo, s20
	v_and_b32_e32 v2, 8, v30
.LBB4_238:                              ;   in Loop: Header=BB4_225 Depth=2
	s_or_b32 exec_lo, exec_lo, s17
	s_delay_alu instid0(VALU_DEP_1)
	v_cmp_eq_u32_e32 vcc_lo, 0, v2
	;;#ASMSTART
	s_wakeup
	;;#ASMEND
	s_or_not1_b32 s17, vcc_lo, exec_lo
.LBB4_239:                              ;   in Loop: Header=BB4_225 Depth=2
	s_or_b32 exec_lo, exec_lo, s3
	v_sub_nc_u32_e32 v2, v66, v10
	s_xor_b32 s3, s6, -1
	s_delay_alu instid0(SALU_CYCLE_1) | instskip(NEXT) | instid1(SALU_CYCLE_1)
	s_and_b32 s3, exec_lo, s3
	s_or_b32 s16, s3, s16
	s_delay_alu instid0(VALU_DEP_1) | instskip(SKIP_1) | instid1(SALU_CYCLE_1)
	v_min_i32_e32 v8, v8, v2
	s_xor_b32 s6, s17, -1
	s_and_saveexec_b32 s3, s6
	s_cbranch_execz .LBB4_247
; %bb.240:                              ;   in Loop: Header=BB4_225 Depth=2
	v_and_b32_e32 v2, 0x100, v30
	s_mov_b32 s17, 0
	s_mov_b32 s6, exec_lo
                                        ; implicit-def: $vgpr52_vgpr53
	s_delay_alu instid0(VALU_DEP_1)
	v_cmpx_ne_u32_e32 0, v2
	s_xor_b32 s6, exec_lo, s6
                                        ; implicit-def: $vgpr50_vgpr51
	s_cbranch_execnz .LBB4_255
; %bb.241:                              ;   in Loop: Header=BB4_225 Depth=2
	s_and_not1_saveexec_b32 s6, s6
	s_cbranch_execnz .LBB4_258
.LBB4_242:                              ;   in Loop: Header=BB4_225 Depth=2
	s_or_b32 exec_lo, exec_lo, s6
	s_and_saveexec_b32 s6, s17
.LBB4_243:                              ;   in Loop: Header=BB4_225 Depth=2
	v_mul_lo_u32 v2, v3, v81
	v_mul_lo_u32 v9, v50, v82
	v_mad_u64_u32 v[52:53], null, v50, v81, 0
	s_delay_alu instid0(VALU_DEP_1)
	v_add3_u32 v53, v53, v9, v2
.LBB4_244:                              ;   in Loop: Header=BB4_225 Depth=2
	s_or_b32 exec_lo, exec_lo, s6
	s_delay_alu instid0(VALU_DEP_1) | instskip(SKIP_2) | instid1(VALU_DEP_2)
	v_lshlrev_b64 v[50:51], 3, v[52:53]
	v_and_b32_e32 v2, 0x2000, v30
	s_mov_b32 s6, exec_lo
	v_add_co_u32 v50, vcc_lo, v24, v50
	s_delay_alu instid0(VALU_DEP_3)
	v_add_co_ci_u32_e32 v51, vcc_lo, v25, v51, vcc_lo
	ds_store_b64 v0, v[50:51] offset:784
	v_cmpx_ne_u32_e32 0, v2
	s_cbranch_execz .LBB4_246
; %bb.245:                              ;   in Loop: Header=BB4_225 Depth=2
	ds_load_b64 v[50:51], v0 offset:584
	s_waitcnt lgkmcnt(0)
	v_add_co_u32 v50, vcc_lo, v50, 1
	v_add_co_ci_u32_e32 v51, vcc_lo, 0, v51, vcc_lo
	ds_store_b64 v0, v[50:51] offset:584
.LBB4_246:                              ;   in Loop: Header=BB4_225 Depth=2
	s_or_b32 exec_lo, exec_lo, s6
	v_add_co_u32 v22, vcc_lo, v22, 2
	v_add_co_ci_u32_e32 v23, vcc_lo, 0, v23, vcc_lo
.LBB4_247:                              ;   in Loop: Header=BB4_225 Depth=2
	s_or_b32 exec_lo, exec_lo, s3
	s_and_saveexec_b32 s6, s36
	s_cbranch_execz .LBB4_273
; %bb.248:                              ;   in Loop: Header=BB4_225 Depth=2
	s_and_saveexec_b32 s3, s4
	s_delay_alu instid0(SALU_CYCLE_1)
	s_xor_b32 s3, exec_lo, s3
	s_cbranch_execz .LBB4_270
; %bb.249:                              ;   in Loop: Header=BB4_225 Depth=2
	s_and_saveexec_b32 s17, s1
	s_cbranch_execz .LBB4_269
; %bb.250:                              ;   in Loop: Header=BB4_225 Depth=2
	s_mov_b32 s20, exec_lo
	s_mov_b32 vcc_hi, exec_lo
	v_mbcnt_lo_u32_b32 v2, s20, 0
	s_waitcnt lgkmcnt(0)
	s_waitcnt_vscnt null, 0x0
	buffer_gl1_inv
	buffer_gl0_inv
	v_cmpx_eq_u32_e32 0, v2
	s_cbranch_execz .LBB4_252
; %bb.251:                              ;   in Loop: Header=BB4_225 Depth=2
	s_bcnt1_i32_b32 s20, s20
	s_delay_alu instid0(SALU_CYCLE_1)
	v_mov_b32_e32 v2, s20
	ds_add_u64 v0, v[2:3]
	s_cbranch_execnz .LBB4_1518
.LBB4_252:                              ;   in Loop: Header=BB4_225 Depth=2
	s_or_b32 exec_lo, exec_lo, vcc_hi
	s_cbranch_execnz .LBB4_1500
; %bb.253:                              ;   in Loop: Header=BB4_225 Depth=2
	ds_load_b64 v[50:51], v0
	v_add_co_u32 v12, vcc_lo, v12, v83
	v_add_co_ci_u32_e32 v13, vcc_lo, 0, v13, vcc_lo
	s_mov_b32 s20, s29
	s_mov_b32 s28, s34
	;; [unrolled: 1-line block ×3, first 2 shown]
	s_mov_b32 vcc_hi, exec_lo
	s_waitcnt lgkmcnt(0)
	v_cmpx_lt_u64_e64 v[50:51], v[12:13]
	s_cbranch_execz .LBB4_268
; %bb.254:                              ;   in Loop: Header=BB4_225 Depth=2
	s_mov_b32 s30, 0
	s_mov_b32 s37, 0
                                        ; implicit-def: $sgpr31
                                        ; implicit-def: $sgpr34
	s_branch .LBB4_260
.LBB4_255:                              ;   in Loop: Header=BB4_225 Depth=2
	v_and_b32_e32 v50, 7, v22
	v_ashrrev_i32_e32 v9, 31, v8
	s_mov_b32 s17, -1
	s_mov_b32 s20, exec_lo
	s_delay_alu instid0(VALU_DEP_2) | instskip(NEXT) | instid1(VALU_DEP_2)
	v_mad_u64_u32 v[54:55], null, v50, 24, v[6:7]
	v_lshlrev_b64 v[51:52], 3, v[8:9]
	flat_load_b32 v2, v[54:55]
	flat_store_b64 v[54:55], v[51:52] offset:8
                                        ; implicit-def: $vgpr52_vgpr53
	s_waitcnt vmcnt(0) lgkmcnt(1)
	v_cmpx_eq_u32_e32 1, v2
	s_cbranch_execz .LBB4_257
; %bb.256:                              ;   in Loop: Header=BB4_225 Depth=2
	flat_load_b32 v50, v[54:55] offset:4 glc
	s_xor_b32 s17, exec_lo, -1
	s_waitcnt vmcnt(0) lgkmcnt(0)
	v_ashrrev_i32_e32 v51, 31, v50
	s_delay_alu instid0(VALU_DEP_1)
	v_lshrrev_b64 v[52:53], 3, v[50:51]
                                        ; implicit-def: $vgpr50_vgpr51
.LBB4_257:                              ;   in Loop: Header=BB4_225 Depth=2
	s_or_b32 exec_lo, exec_lo, s20
	s_delay_alu instid0(SALU_CYCLE_1)
	s_and_b32 s17, s17, exec_lo
	s_and_not1_saveexec_b32 s6, s6
	s_cbranch_execz .LBB4_242
.LBB4_258:                              ;   in Loop: Header=BB4_225 Depth=2
	v_and_b32_e32 v50, 7, v22
	s_or_b32 s17, s17, exec_lo
                                        ; implicit-def: $vgpr52_vgpr53
	s_or_b32 exec_lo, exec_lo, s6
	s_and_saveexec_b32 s6, s17
	s_cbranch_execnz .LBB4_243
	s_branch .LBB4_244
.LBB4_259:                              ;   in Loop: Header=BB4_260 Depth=3
	s_or_b32 exec_lo, exec_lo, s39
	s_delay_alu instid0(SALU_CYCLE_1) | instskip(NEXT) | instid1(SALU_CYCLE_1)
	s_and_b32 vcc_lo, exec_lo, vcc_lo
	s_or_b32 s30, vcc_lo, s30
	s_and_not1_b32 vcc_lo, s31, exec_lo
	s_and_b32 s31, s34, exec_lo
	s_delay_alu instid0(SALU_CYCLE_1)
	s_or_b32 s31, vcc_lo, s31
	s_and_not1_b32 exec_lo, exec_lo, s30
	s_cbranch_execz .LBB4_266
.LBB4_260:                              ;   Parent Loop BB4_51 Depth=1
                                        ;     Parent Loop BB4_225 Depth=2
                                        ; =>    This Inner Loop Header: Depth=3
	s_add_i32 s37, s37, 1
                                        ; implicit-def: $sgpr39
	s_delay_alu instid0(SALU_CYCLE_1) | instskip(SKIP_1) | instid1(SALU_CYCLE_1)
	s_cmpk_lg_i32 s37, 0x2710
	s_cselect_b32 s38, -1, 0
	s_and_b32 vcc_lo, exec_lo, s38
	s_cbranch_vccz .LBB4_264
.LBB4_261:                              ;   in Loop: Header=BB4_260 Depth=3
	s_and_not1_b32 s34, s34, exec_lo
	s_and_b32 s39, s39, exec_lo
	s_mov_b32 vcc_lo, -1
	s_or_b32 s34, s34, s39
	s_and_saveexec_b32 s39, s38
	s_cbranch_execz .LBB4_259
; %bb.262:                              ;   in Loop: Header=BB4_260 Depth=3
	s_sleep 1
	s_cbranch_execnz .LBB4_1548
; %bb.263:                              ;   in Loop: Header=BB4_260 Depth=3
	ds_load_b64 v[50:51], v0
	s_and_not1_b32 s34, s34, exec_lo
	s_waitcnt lgkmcnt(0)
	v_cmp_ge_u64_e32 vcc_lo, v[50:51], v[12:13]
	s_or_not1_b32 vcc_lo, vcc_lo, exec_lo
	s_branch .LBB4_259
.LBB4_264:                              ;   in Loop: Header=BB4_260 Depth=3
	s_cbranch_execnz .LBB4_1554
; %bb.265:                              ;   in Loop: Header=BB4_260 Depth=3
	ds_load_b64 v[50:51], v0
	s_and_not1_b32 s38, s38, exec_lo
	s_mov_b32 s37, 0
	s_mov_b32 s39, -1
	s_waitcnt lgkmcnt(0)
	flat_load_b32 v2, v[50:51] glc
	s_waitcnt vmcnt(0) lgkmcnt(0)
	buffer_gl1_inv
	buffer_gl0_inv
	v_cmp_eq_u32_e32 vcc_lo, 0, v2
	s_and_b32 vcc_lo, vcc_lo, exec_lo
	s_delay_alu instid0(SALU_CYCLE_1)
	s_or_b32 s38, s38, vcc_lo
	s_branch .LBB4_261
.LBB4_266:                              ;   in Loop: Header=BB4_225 Depth=2
	s_or_b32 exec_lo, exec_lo, s30
	s_and_saveexec_b32 vcc_lo, s31
	s_delay_alu instid0(SALU_CYCLE_1)
	s_xor_b32 vcc_lo, exec_lo, vcc_lo
	s_cbranch_execz .LBB4_268
; %bb.267:                              ;   in Loop: Header=BB4_225 Depth=2
	ds_store_b32 v0, v128
	s_cbranch_execnz .LBB4_1764
.LBB4_268:                              ;   in Loop: Header=BB4_225 Depth=2
	s_or_b32 exec_lo, exec_lo, vcc_hi
	s_mov_b32 s31, s29
	s_mov_b32 s34, s28
	;; [unrolled: 1-line block ×3, first 2 shown]
	;;#ASMSTART
	s_wakeup
	;;#ASMEND
.LBB4_269:                              ;   in Loop: Header=BB4_225 Depth=2
	s_or_b32 exec_lo, exec_lo, s17
.LBB4_270:                              ;   in Loop: Header=BB4_225 Depth=2
	s_and_not1_saveexec_b32 s3, s3
	s_cbranch_execz .LBB4_272
; %bb.271:                              ;   in Loop: Header=BB4_225 Depth=2
	s_waitcnt lgkmcnt(0)
	s_waitcnt_vscnt null, 0x0
	buffer_gl1_inv
	buffer_gl0_inv
	s_barrier
.LBB4_272:                              ;   in Loop: Header=BB4_225 Depth=2
	s_or_b32 exec_lo, exec_lo, s3
.LBB4_273:                              ;   in Loop: Header=BB4_225 Depth=2
	s_delay_alu instid0(SALU_CYCLE_1) | instskip(SKIP_1) | instid1(SALU_CYCLE_1)
	s_or_b32 exec_lo, exec_lo, s6
                                        ; implicit-def: $vgpr2
	s_and_saveexec_b32 s3, s7
	s_xor_b32 s3, exec_lo, s3
	s_cbranch_execz .LBB4_278
; %bb.274:                              ;   in Loop: Header=BB4_225 Depth=2
	s_cbranch_execnz .LBB4_1473
; %bb.275:                              ;   in Loop: Header=BB4_225 Depth=2
	ds_load_b32 v2, v0
	s_mov_b32 s6, s13
	v_cmp_lt_i32_e32 vcc_lo, 0, v8
	s_waitcnt lgkmcnt(0)
	v_readfirstlane_b32 s13, v2
	v_and_b32_e32 v2, 16, v30
	s_delay_alu instid0(VALU_DEP_2) | instskip(NEXT) | instid1(VALU_DEP_1)
	s_cmp_eq_u32 s13, 0
	v_cmp_ne_u32_e64 s13, 0, v2
	s_cselect_b32 s17, -1, 0
	v_and_b32_e32 v2, 16, v30
	s_and_b32 s17, vcc_lo, s17
	s_delay_alu instid0(VALU_DEP_2) | instid1(SALU_CYCLE_1)
	s_and_b32 s17, s13, s17
	s_delay_alu instid0(SALU_CYCLE_1)
	s_and_saveexec_b32 s13, s17
	s_cbranch_execz .LBB4_277
; %bb.276:                              ;   in Loop: Header=BB4_225 Depth=2
	v_mov_b32_e32 v2, 1
	s_waitcnt_vscnt null, 0x0
	buffer_gl1_inv
	buffer_gl0_inv
.LBB4_277:                              ;   in Loop: Header=BB4_225 Depth=2
	s_or_b32 exec_lo, exec_lo, s13
	s_mov_b32 s13, s6
.LBB4_278:                              ;   in Loop: Header=BB4_225 Depth=2
	s_and_not1_saveexec_b32 s6, s3
	s_cbranch_execz .LBB4_300
; %bb.279:                              ;   in Loop: Header=BB4_225 Depth=2
	s_and_saveexec_b32 s3, s4
	s_delay_alu instid0(SALU_CYCLE_1)
	s_xor_b32 s3, exec_lo, s3
	s_cbranch_execz .LBB4_297
; %bb.280:                              ;   in Loop: Header=BB4_225 Depth=2
	s_and_saveexec_b32 s17, s1
	s_cbranch_execz .LBB4_296
; %bb.281:                              ;   in Loop: Header=BB4_225 Depth=2
	s_mov_b32 s30, exec_lo
	s_mov_b32 s20, s29
	v_mbcnt_lo_u32_b32 v2, s30, 0
	s_mov_b32 s28, s34
	s_mov_b32 s29, s31
	s_mov_b32 vcc_hi, exec_lo
	;;#ASMSTART
	s_waitcnt lgkmcnt(0) vmcnt(0)
	;;#ASMEND
	v_cmpx_eq_u32_e32 0, v2
	s_cbranch_execz .LBB4_283
; %bb.282:                              ;   in Loop: Header=BB4_225 Depth=2
	s_bcnt1_i32_b32 vcc_lo, s30
	s_delay_alu instid0(SALU_CYCLE_1)
	v_mov_b32_e32 v2, vcc_lo
	ds_add_u64 v0, v[2:3]
	s_cbranch_execnz .LBB4_1536
.LBB4_283:                              ;   in Loop: Header=BB4_225 Depth=2
	s_or_b32 exec_lo, exec_lo, vcc_hi
	s_cbranch_execnz .LBB4_1514
; %bb.284:                              ;   in Loop: Header=BB4_225 Depth=2
	ds_load_b64 v[50:51], v0
	v_add_co_u32 v12, vcc_lo, v12, v83
	v_add_co_ci_u32_e32 v13, vcc_lo, 0, v13, vcc_lo
	s_mov_b32 vcc_hi, exec_lo
	s_waitcnt lgkmcnt(0)
	s_delay_alu instid0(VALU_DEP_1)
	v_cmpx_lt_u64_e64 v[50:51], v[12:13]
	s_cbranch_execz .LBB4_295
; %bb.285:                              ;   in Loop: Header=BB4_225 Depth=2
	s_mov_b32 s30, 0
	s_mov_b32 s37, 0
                                        ; implicit-def: $sgpr31
                                        ; implicit-def: $sgpr34
	s_branch .LBB4_287
.LBB4_286:                              ;   in Loop: Header=BB4_287 Depth=3
	s_or_b32 exec_lo, exec_lo, s39
	s_delay_alu instid0(SALU_CYCLE_1) | instskip(NEXT) | instid1(SALU_CYCLE_1)
	s_and_b32 vcc_lo, exec_lo, vcc_lo
	s_or_b32 s30, vcc_lo, s30
	s_and_not1_b32 vcc_lo, s31, exec_lo
	s_and_b32 s31, s34, exec_lo
	s_delay_alu instid0(SALU_CYCLE_1)
	s_or_b32 s31, vcc_lo, s31
	s_and_not1_b32 exec_lo, exec_lo, s30
	s_cbranch_execz .LBB4_293
.LBB4_287:                              ;   Parent Loop BB4_51 Depth=1
                                        ;     Parent Loop BB4_225 Depth=2
                                        ; =>    This Inner Loop Header: Depth=3
	s_add_i32 s37, s37, 1
                                        ; implicit-def: $sgpr39
	s_delay_alu instid0(SALU_CYCLE_1) | instskip(SKIP_1) | instid1(SALU_CYCLE_1)
	s_cmpk_lg_i32 s37, 0x2710
	s_cselect_b32 s38, -1, 0
	s_and_b32 vcc_lo, exec_lo, s38
	s_cbranch_vccz .LBB4_291
.LBB4_288:                              ;   in Loop: Header=BB4_287 Depth=3
	s_and_not1_b32 s34, s34, exec_lo
	s_and_b32 s39, s39, exec_lo
	s_mov_b32 vcc_lo, -1
	s_or_b32 s34, s34, s39
	s_and_saveexec_b32 s39, s38
	s_cbranch_execz .LBB4_286
; %bb.289:                              ;   in Loop: Header=BB4_287 Depth=3
	s_sleep 1
	s_cbranch_execnz .LBB4_1560
; %bb.290:                              ;   in Loop: Header=BB4_287 Depth=3
	ds_load_b64 v[50:51], v0
	s_and_not1_b32 s34, s34, exec_lo
	s_waitcnt lgkmcnt(0)
	v_cmp_ge_u64_e32 vcc_lo, v[50:51], v[12:13]
	s_or_not1_b32 vcc_lo, vcc_lo, exec_lo
	s_branch .LBB4_286
.LBB4_291:                              ;   in Loop: Header=BB4_287 Depth=3
	s_cbranch_execnz .LBB4_1572
; %bb.292:                              ;   in Loop: Header=BB4_287 Depth=3
	ds_load_b64 v[50:51], v0
	s_and_not1_b32 s38, s38, exec_lo
	s_mov_b32 s37, 0
	s_mov_b32 s39, -1
	s_waitcnt lgkmcnt(0)
	s_waitcnt_vscnt null, 0x0
	flat_load_b32 v2, v[50:51] glc
	s_waitcnt vmcnt(0) lgkmcnt(0)
	buffer_gl1_inv
	buffer_gl0_inv
	v_cmp_eq_u32_e32 vcc_lo, 0, v2
	s_and_b32 vcc_lo, vcc_lo, exec_lo
	s_delay_alu instid0(SALU_CYCLE_1)
	s_or_b32 s38, s38, vcc_lo
	s_branch .LBB4_288
.LBB4_293:                              ;   in Loop: Header=BB4_225 Depth=2
	s_or_b32 exec_lo, exec_lo, s30
	s_and_saveexec_b32 vcc_lo, s31
	s_delay_alu instid0(SALU_CYCLE_1)
	s_xor_b32 vcc_lo, exec_lo, vcc_lo
	s_cbranch_execz .LBB4_295
; %bb.294:                              ;   in Loop: Header=BB4_225 Depth=2
	ds_store_b32 v0, v128
	s_cbranch_execnz .LBB4_1784
.LBB4_295:                              ;   in Loop: Header=BB4_225 Depth=2
	s_or_b32 exec_lo, exec_lo, vcc_hi
	s_mov_b32 s31, s29
	s_mov_b32 s34, s28
	;; [unrolled: 1-line block ×3, first 2 shown]
	;;#ASMSTART
	s_wakeup
	;;#ASMEND
.LBB4_296:                              ;   in Loop: Header=BB4_225 Depth=2
	s_or_b32 exec_lo, exec_lo, s17
.LBB4_297:                              ;   in Loop: Header=BB4_225 Depth=2
	s_and_not1_saveexec_b32 s3, s3
	s_cbranch_execz .LBB4_299
; %bb.298:                              ;   in Loop: Header=BB4_225 Depth=2
	;;#ASMSTART
	s_waitcnt lgkmcnt(0) vmcnt(0)
	;;#ASMEND
	s_waitcnt lgkmcnt(0)
	s_waitcnt_vscnt null, 0x0
	s_barrier
.LBB4_299:                              ;   in Loop: Header=BB4_225 Depth=2
	s_or_b32 exec_lo, exec_lo, s3
	v_and_b32_e32 v2, 16, v30
.LBB4_300:                              ;   in Loop: Header=BB4_225 Depth=2
	s_or_b32 exec_lo, exec_lo, s6
	s_delay_alu instid0(SALU_CYCLE_1) | instskip(NEXT) | instid1(VALU_DEP_1)
	s_mov_b32 s3, exec_lo
	v_cmpx_ne_u32_e32 0, v2
	s_cbranch_execz .LBB4_304
; %bb.301:                              ;   in Loop: Header=BB4_225 Depth=2
	s_and_saveexec_b32 s6, s11
	s_cbranch_execz .LBB4_303
; %bb.302:                              ;   in Loop: Header=BB4_225 Depth=2
	s_waitcnt lgkmcnt(0)
	s_waitcnt_vscnt null, 0x0
	flat_store_b32 v[26:27], v128
.LBB4_303:                              ;   in Loop: Header=BB4_225 Depth=2
	s_or_b32 exec_lo, exec_lo, s6
	v_add_co_u32 v22, vcc_lo, v22, 2
	v_add_co_ci_u32_e32 v23, vcc_lo, 0, v23, vcc_lo
	s_waitcnt lgkmcnt(0)
	s_waitcnt_vscnt null, 0x0
	flat_store_b64 v[20:21], v[22:23]
.LBB4_304:                              ;   in Loop: Header=BB4_225 Depth=2
	s_or_b32 exec_lo, exec_lo, s3
	v_add_nc_u32_e32 v10, v8, v10
	s_mov_b32 s6, 0
	s_and_not1_b32 exec_lo, exec_lo, s16
	s_cbranch_execnz .LBB4_225
; %bb.305:                              ;   in Loop: Header=BB4_51 Depth=1
	s_or_b32 exec_lo, exec_lo, s16
.LBB4_306:                              ;   in Loop: Header=BB4_51 Depth=1
	s_delay_alu instid0(SALU_CYCLE_1) | instskip(NEXT) | instid1(SALU_CYCLE_1)
	s_or_b32 exec_lo, exec_lo, s15
	s_and_not1_b32 vcc_lo, exec_lo, s29
	s_cbranch_vccnz .LBB4_567
; %bb.307:                              ;   in Loop: Header=BB4_51 Depth=1
	v_writelane_b32 v42, s5, 4
	s_mov_b32 s16, 2
	v_writelane_b32 v42, s12, 5
.LBB4_308:                              ;   Parent Loop BB4_51 Depth=1
                                        ; =>  This Loop Header: Depth=2
                                        ;       Child Loop BB4_310 Depth 3
                                        ;         Child Loop BB4_319 Depth 4
                                        ;         Child Loop BB4_351 Depth 4
	;; [unrolled: 1-line block ×9, first 2 shown]
                                        ;       Child Loop BB4_483 Depth 3
                                        ;         Child Loop BB4_489 Depth 4
                                        ;         Child Loop BB4_519 Depth 4
	;; [unrolled: 1-line block ×3, first 2 shown]
	s_sub_i32 s3, s24, s16
	v_mov_b32_e32 v10, 0
	s_cmp_le_i32 s19, s3
	s_mov_b32 s30, 0
	s_cselect_b32 s5, s19, 0
	s_delay_alu instid0(SALU_CYCLE_1) | instskip(NEXT) | instid1(SALU_CYCLE_1)
	s_sub_i32 s3, s3, s5
	s_ashr_i32 s5, s3, 31
	v_mul_lo_u32 v2, v37, s3
	v_mad_u64_u32 v[50:51], null, v36, s3, 0
	v_mul_lo_u32 v8, v36, s5
	s_delay_alu instid0(VALU_DEP_1) | instskip(NEXT) | instid1(VALU_DEP_3)
	v_add3_u32 v51, v51, v8, v2
	v_sub_co_u32 v8, vcc_lo, v38, v50
	s_delay_alu instid0(VALU_DEP_2) | instskip(NEXT) | instid1(VALU_DEP_1)
	v_sub_co_ci_u32_e32 v9, vcc_lo, v39, v51, vcc_lo
	v_cmp_lt_i64_e32 vcc_lo, v[36:37], v[8:9]
	v_cndmask_b32_e32 v8, v8, v36, vcc_lo
	s_delay_alu instid0(VALU_DEP_1) | instskip(NEXT) | instid1(VALU_DEP_1)
	v_max_i32_e32 v66, 0, v8
	v_add_nc_u32_e32 v2, 31, v66
	s_delay_alu instid0(VALU_DEP_1) | instskip(NEXT) | instid1(VALU_DEP_1)
	v_lshrrev_b32_e32 v2, 1, v2
	v_and_b32_e32 v9, 0x3ffffff0, v2
	v_cmp_lt_i32_e32 vcc_lo, 0, v8
	v_mov_b32_e32 v2, 0
	s_delay_alu instid0(VALU_DEP_3) | instskip(SKIP_1) | instid1(SALU_CYCLE_1)
	v_max_i32_e32 v8, s25, v9
	s_and_b32 s3, s34, vcc_lo
	s_and_saveexec_b32 s17, s3
	s_cbranch_execz .LBB4_481
; %bb.309:                              ;   in Loop: Header=BB4_308 Depth=2
	v_lshlrev_b64 v[50:51], 3, v[50:51]
	v_mov_b32_e32 v10, 0
	s_mov_b32 s6, 1
	s_mov_b32 s15, -1
.LBB4_310:                              ;   Parent Loop BB4_51 Depth=1
                                        ;     Parent Loop BB4_308 Depth=2
                                        ; =>    This Loop Header: Depth=3
                                        ;         Child Loop BB4_319 Depth 4
                                        ;         Child Loop BB4_351 Depth 4
	;; [unrolled: 1-line block ×9, first 2 shown]
	s_and_saveexec_b32 s3, s0
	s_cbranch_execz .LBB4_313
; %bb.311:                              ;   in Loop: Header=BB4_310 Depth=3
	s_cbranch_execnz .LBB4_1483
; %bb.312:                              ;   in Loop: Header=BB4_310 Depth=3
	ds_load_b64 v[52:53], v0
	v_lshlrev_b64 v[54:55], 3, v[48:49]
	v_ashrrev_i32_e32 v11, 31, v10
	s_waitcnt lgkmcnt(0)
	s_delay_alu instid0(VALU_DEP_2) | instskip(NEXT) | instid1(VALU_DEP_3)
	v_add_co_u32 v2, vcc_lo, v52, v54
	v_add_co_ci_u32_e32 v9, vcc_lo, v53, v55, vcc_lo
	s_delay_alu instid0(VALU_DEP_3) | instskip(NEXT) | instid1(VALU_DEP_3)
	v_lshlrev_b64 v[52:53], 3, v[10:11]
	v_add_co_u32 v2, vcc_lo, v2, v50
	s_delay_alu instid0(VALU_DEP_3) | instskip(NEXT) | instid1(VALU_DEP_2)
	v_add_co_ci_u32_e32 v9, vcc_lo, v9, v51, vcc_lo
	v_add_co_u32 v52, vcc_lo, v2, v52
	s_delay_alu instid0(VALU_DEP_2)
	v_add_co_ci_u32_e32 v53, vcc_lo, v9, v53, vcc_lo
	v_mov_b32_e32 v2, v3
	ds_store_b64 v0, v[52:53]
	ds_store_b64 v0, v[2:3]
.LBB4_313:                              ;   in Loop: Header=BB4_310 Depth=3
	s_or_b32 exec_lo, exec_lo, s3
	v_and_b32_e32 v2, 12, v30
	s_mov_b32 s28, -1
	s_mov_b32 s3, exec_lo
	s_delay_alu instid0(VALU_DEP_1)
	v_cmpx_ne_u32_e32 0, v2
	s_cbranch_execz .LBB4_327
; %bb.314:                              ;   in Loop: Header=BB4_310 Depth=3
	v_dual_mov_b32 v9, 1 :: v_dual_and_b32 v2, 8, v30
	s_mov_b32 s5, s29
	s_mov_b32 s12, s15
	;; [unrolled: 1-line block ×3, first 2 shown]
	s_delay_alu instid0(VALU_DEP_1)
	v_add_co_u32 v54, vcc_lo, v28, v2
	v_add_co_ci_u32_e32 v55, vcc_lo, 0, v29, vcc_lo
	v_add_co_u32 v52, vcc_lo, v22, 2
	v_add_co_ci_u32_e32 v53, vcc_lo, 0, v23, vcc_lo
	s_mov_b32 s20, s31
	s_mov_b32 s28, exec_lo
	s_delay_alu instid0(VALU_DEP_1)
	v_cmpx_lt_u64_e64 v[54:55], v[52:53]
	s_cbranch_execz .LBB4_326
; %bb.315:                              ;   in Loop: Header=BB4_310 Depth=3
	v_mov_b32_e32 v9, 0
	s_mov_b32 s29, 0
                                        ; implicit-def: $vcc_hi
	s_branch .LBB4_319
.LBB4_316:                              ;   in Loop: Header=BB4_319 Depth=4
	s_or_b32 exec_lo, exec_lo, s38
	v_mov_b32_e32 v11, 0
	s_or_not1_b32 s37, s37, exec_lo
.LBB4_317:                              ;   in Loop: Header=BB4_319 Depth=4
	s_or_b32 exec_lo, exec_lo, s34
	s_delay_alu instid0(VALU_DEP_1) | instskip(SKIP_2) | instid1(SALU_CYCLE_1)
	v_mov_b32_e32 v9, v11
	s_and_not1_b32 vcc_lo, vcc_hi, exec_lo
	s_and_b32 vcc_hi, s37, exec_lo
	s_or_b32 vcc_hi, vcc_lo, vcc_hi
.LBB4_318:                              ;   in Loop: Header=BB4_319 Depth=4
	s_or_b32 exec_lo, exec_lo, s31
	s_waitcnt vmcnt(0) lgkmcnt(0)
	v_add_co_u32 v54, vcc_lo, v28, v2
	v_add_co_ci_u32_e32 v55, vcc_lo, 0, v29, vcc_lo
	s_delay_alu instid0(VALU_DEP_1) | instskip(SKIP_1) | instid1(SALU_CYCLE_1)
	v_cmp_ge_u64_e32 vcc_lo, v[54:55], v[52:53]
	s_xor_b32 s31, vcc_hi, -1
	s_or_b32 vcc_lo, s31, vcc_lo
	s_delay_alu instid0(SALU_CYCLE_1) | instskip(NEXT) | instid1(SALU_CYCLE_1)
	s_and_b32 vcc_lo, exec_lo, vcc_lo
	s_or_b32 s29, vcc_lo, s29
	s_delay_alu instid0(SALU_CYCLE_1)
	s_and_not1_b32 exec_lo, exec_lo, s29
	s_cbranch_execz .LBB4_325
.LBB4_319:                              ;   Parent Loop BB4_51 Depth=1
                                        ;     Parent Loop BB4_308 Depth=2
                                        ;       Parent Loop BB4_310 Depth=3
                                        ; =>      This Inner Loop Header: Depth=4
	s_sleep 1
	flat_load_b64 v[28:29], v[20:21] glc
	v_and_b32_e32 v11, 64, v30
	s_and_not1_b32 vcc_hi, vcc_hi, exec_lo
	s_mov_b32 s31, exec_lo
	s_delay_alu instid0(VALU_DEP_1)
	v_cmpx_eq_u32_e32 0, v11
	s_cbranch_execz .LBB4_318
; %bb.320:                              ;   in Loop: Header=BB4_319 Depth=4
	v_add_nc_u32_e32 v11, 1, v9
	s_mov_b32 s37, -1
	s_mov_b32 s34, exec_lo
	v_cmpx_lt_i32_e32 0x270e, v9
	s_cbranch_execz .LBB4_317
; %bb.321:                              ;   in Loop: Header=BB4_319 Depth=4
	s_cbranch_execnz .LBB4_1516
; %bb.322:                              ;   in Loop: Header=BB4_319 Depth=4
	ds_load_b64 v[54:55], v0
	s_mov_b32 s38, exec_lo
	s_waitcnt vmcnt(0) lgkmcnt(0)
	s_waitcnt_vscnt null, 0x0
	flat_load_b32 v9, v[54:55] glc
	s_waitcnt vmcnt(0) lgkmcnt(0)
	buffer_gl1_inv
	buffer_gl0_inv
	v_cmpx_ne_u32_e32 0, v9
	s_cbranch_execz .LBB4_316
; %bb.323:                              ;   in Loop: Header=BB4_319 Depth=4
	ds_store_b32 v0, v9
	s_cbranch_execnz .LBB4_1566
; %bb.324:                              ;   in Loop: Header=BB4_319 Depth=4
	v_or_b32_e32 v30, 64, v30
	s_xor_b32 s37, exec_lo, -1
	s_branch .LBB4_316
.LBB4_325:                              ;   in Loop: Header=BB4_310 Depth=3
	s_or_b32 exec_lo, exec_lo, s29
	v_and_b32_e32 v9, 12, v30
.LBB4_326:                              ;   in Loop: Header=BB4_310 Depth=3
	s_or_b32 exec_lo, exec_lo, s28
	s_delay_alu instid0(VALU_DEP_1)
	v_cmp_eq_u32_e32 vcc_lo, 0, v9
	s_mov_b32 s31, s20
	s_mov_b32 s34, s15
	;; [unrolled: 1-line block ×4, first 2 shown]
	s_or_not1_b32 s28, vcc_lo, exec_lo
	;;#ASMSTART
	s_wakeup
	;;#ASMEND
.LBB4_327:                              ;   in Loop: Header=BB4_310 Depth=3
	s_or_b32 exec_lo, exec_lo, s3
	v_sub_nc_u32_e32 v2, v66, v10
	s_xor_b32 s5, s28, -1
	s_delay_alu instid0(VALU_DEP_1)
	v_min_i32_e32 v8, v8, v2
	s_and_saveexec_b32 s3, s5
	s_cbranch_execz .LBB4_342
; %bb.328:                              ;   in Loop: Header=BB4_310 Depth=3
	v_and_b32_e32 v2, 0x108, v30
	s_mov_b32 s5, s29
	s_mov_b32 s12, s15
	;; [unrolled: 1-line block ×3, first 2 shown]
	s_mov_b32 s13, exec_lo
	v_cmpx_ne_u32_e32 0x108, v2
	s_xor_b32 s13, exec_lo, s13
                                        ; implicit-def: $vgpr52_vgpr53
; %bb.329:                              ;   in Loop: Header=BB4_310 Depth=3
	v_and_b32_e32 v52, 7, v22
; %bb.330:                              ;   in Loop: Header=BB4_310 Depth=3
	s_and_not1_saveexec_b32 s13, s13
	s_cbranch_execz .LBB4_332
; %bb.331:                              ;   in Loop: Header=BB4_310 Depth=3
	v_and_b32_e32 v52, 7, v22
	v_ashrrev_i32_e32 v9, 31, v8
	s_delay_alu instid0(VALU_DEP_2) | instskip(NEXT) | instid1(VALU_DEP_2)
	v_mad_u64_u32 v[53:54], null, v52, 24, v[6:7]
	v_lshlrev_b64 v[64:65], 3, v[8:9]
	flat_store_b64 v[53:54], v[64:65] offset:8
.LBB4_332:                              ;   in Loop: Header=BB4_310 Depth=3
	s_or_b32 exec_lo, exec_lo, s13
	v_and_b32_e32 v2, 0x100, v30
	s_mov_b32 s13, -1
	s_mov_b32 s29, exec_lo
                                        ; implicit-def: $vgpr53_vgpr54
	s_delay_alu instid0(VALU_DEP_1)
	v_cmpx_ne_u32_e32 0, v2
	s_cbranch_execnz .LBB4_335
; %bb.333:                              ;   in Loop: Header=BB4_310 Depth=3
	s_or_b32 exec_lo, exec_lo, s29
	s_and_saveexec_b32 s29, s13
	s_cbranch_execnz .LBB4_338
.LBB4_334:                              ;   in Loop: Header=BB4_310 Depth=3
	s_or_b32 exec_lo, exec_lo, s29
	s_cbranch_execnz .LBB4_1510
	s_branch .LBB4_339
.LBB4_335:                              ;   in Loop: Header=BB4_310 Depth=3
	v_mad_u64_u32 v[64:65], null, v52, 24, v[6:7]
	s_delay_alu instid0(VALU_DEP_1) | instskip(NEXT) | instid1(VALU_DEP_1)
	v_mov_b32_e32 v2, v65
	v_mad_u64_u32 v[53:54], null, v3, 24, v[2:3]
	s_delay_alu instid0(VALU_DEP_1)
	v_mov_b32_e32 v65, v53
                                        ; implicit-def: $vgpr53_vgpr54
	flat_load_b32 v2, v[64:65]
	s_waitcnt vmcnt(0) lgkmcnt(0)
	v_cmp_ne_u32_e32 vcc_lo, 1, v2
	s_mov_b32 vcc_hi, exec_lo
	v_cmpx_eq_u32_e32 1, v2
	s_cbranch_execz .LBB4_337
; %bb.336:                              ;   in Loop: Header=BB4_310 Depth=3
	flat_load_b32 v53, v[64:65] offset:4 glc
	s_waitcnt vmcnt(0) lgkmcnt(0)
	v_ashrrev_i32_e32 v54, 31, v53
	s_delay_alu instid0(VALU_DEP_1)
	v_lshrrev_b64 v[53:54], 3, v[53:54]
.LBB4_337:                              ;   in Loop: Header=BB4_310 Depth=3
	s_or_b32 exec_lo, exec_lo, vcc_hi
	s_delay_alu instid0(SALU_CYCLE_1)
	s_or_not1_b32 s13, vcc_lo, exec_lo
	s_or_b32 exec_lo, exec_lo, s29
	s_and_saveexec_b32 s29, s13
	s_cbranch_execz .LBB4_334
.LBB4_338:                              ;   in Loop: Header=BB4_310 Depth=3
	v_mul_lo_u32 v2, v3, v81
	v_mul_lo_u32 v9, v52, v82
	v_mad_u64_u32 v[53:54], null, v52, v81, 0
	s_delay_alu instid0(VALU_DEP_1)
	v_add3_u32 v54, v54, v9, v2
	s_or_b32 exec_lo, exec_lo, s29
	s_cbranch_execnz .LBB4_1510
.LBB4_339:                              ;   in Loop: Header=BB4_310 Depth=3
	s_delay_alu instid0(VALU_DEP_1) | instskip(SKIP_2) | instid1(VALU_DEP_2)
	v_lshlrev_b64 v[52:53], 3, v[53:54]
	v_and_b32_e32 v2, 0x2000, v30
	s_mov_b32 s13, exec_lo
	v_add_co_u32 v52, vcc_lo, v24, v52
	s_delay_alu instid0(VALU_DEP_3)
	v_add_co_ci_u32_e32 v53, vcc_lo, v25, v53, vcc_lo
	ds_store_b64 v0, v[52:53]
	v_cmpx_ne_u32_e32 0, v2
	s_cbranch_execz .LBB4_341
; %bb.340:                              ;   in Loop: Header=BB4_310 Depth=3
	ds_load_b64 v[52:53], v0 offset:584
	s_waitcnt lgkmcnt(0)
	v_add_co_u32 v52, vcc_lo, v52, 1
	v_add_co_ci_u32_e32 v53, vcc_lo, 0, v53, vcc_lo
	ds_store_b64 v0, v[52:53] offset:584
.LBB4_341:                              ;   in Loop: Header=BB4_310 Depth=3
	s_or_b32 exec_lo, exec_lo, s13
	v_add_co_u32 v22, vcc_lo, v22, 2
	v_add_co_ci_u32_e32 v23, vcc_lo, 0, v23, vcc_lo
	s_mov_b32 s13, s15
	s_mov_b32 s15, s12
	;; [unrolled: 1-line block ×3, first 2 shown]
.LBB4_342:                              ;   in Loop: Header=BB4_310 Depth=3
	s_or_b32 exec_lo, exec_lo, s3
	v_writelane_b32 v42, s6, 15
	v_writelane_b32 v42, s15, 16
	s_and_saveexec_b32 s6, s36
	s_cbranch_execz .LBB4_364
; %bb.343:                              ;   in Loop: Header=BB4_310 Depth=3
	s_mov_b32 s15, s29
	s_mov_b32 s5, s13
	;; [unrolled: 1-line block ×5, first 2 shown]
	s_and_saveexec_b32 s20, s4
	s_delay_alu instid0(SALU_CYCLE_1)
	s_xor_b32 s4, exec_lo, s20
	s_cbranch_execz .LBB4_361
; %bb.344:                              ;   in Loop: Header=BB4_310 Depth=3
	s_and_saveexec_b32 s20, s1
	s_cbranch_execz .LBB4_360
; %bb.345:                              ;   in Loop: Header=BB4_310 Depth=3
	s_mov_b32 s29, exec_lo
	s_mov_b32 s28, exec_lo
	v_mbcnt_lo_u32_b32 v2, s29, 0
	s_waitcnt lgkmcnt(0)
	s_waitcnt_vscnt null, 0x0
	buffer_gl1_inv
	buffer_gl0_inv
	v_cmpx_eq_u32_e32 0, v2
	s_cbranch_execz .LBB4_347
; %bb.346:                              ;   in Loop: Header=BB4_310 Depth=3
	s_bcnt1_i32_b32 s29, s29
	s_delay_alu instid0(SALU_CYCLE_1)
	v_mov_b32_e32 v2, s29
	ds_add_u64 v0, v[2:3]
	s_cbranch_execnz .LBB4_1622
.LBB4_347:                              ;   in Loop: Header=BB4_310 Depth=3
	s_or_b32 exec_lo, exec_lo, s28
	s_cbranch_execnz .LBB4_1588
; %bb.348:                              ;   in Loop: Header=BB4_310 Depth=3
	ds_load_b64 v[52:53], v0
	v_add_co_u32 v12, vcc_lo, v12, v83
	v_add_co_ci_u32_e32 v13, vcc_lo, 0, v13, vcc_lo
	s_mov_b32 s28, exec_lo
	s_waitcnt lgkmcnt(0)
	s_delay_alu instid0(VALU_DEP_1)
	v_cmpx_lt_u64_e64 v[52:53], v[12:13]
	s_cbranch_execz .LBB4_359
; %bb.349:                              ;   in Loop: Header=BB4_310 Depth=3
	s_mov_b32 s29, 0
	s_mov_b32 s34, 0
                                        ; implicit-def: $vcc_hi
                                        ; implicit-def: $sgpr31
	s_branch .LBB4_351
.LBB4_350:                              ;   in Loop: Header=BB4_351 Depth=4
	s_or_b32 exec_lo, exec_lo, s38
	s_delay_alu instid0(SALU_CYCLE_1) | instskip(NEXT) | instid1(SALU_CYCLE_1)
	s_and_b32 vcc_lo, exec_lo, vcc_lo
	s_or_b32 s29, vcc_lo, s29
	s_and_not1_b32 vcc_lo, vcc_hi, exec_lo
	s_and_b32 vcc_hi, s31, exec_lo
	s_delay_alu instid0(SALU_CYCLE_1)
	s_or_b32 vcc_hi, vcc_lo, vcc_hi
	s_and_not1_b32 exec_lo, exec_lo, s29
	s_cbranch_execz .LBB4_357
.LBB4_351:                              ;   Parent Loop BB4_51 Depth=1
                                        ;     Parent Loop BB4_308 Depth=2
                                        ;       Parent Loop BB4_310 Depth=3
                                        ; =>      This Inner Loop Header: Depth=4
	s_add_i32 s34, s34, 1
                                        ; implicit-def: $sgpr38
	s_delay_alu instid0(SALU_CYCLE_1) | instskip(SKIP_1) | instid1(SALU_CYCLE_1)
	s_cmpk_lg_i32 s34, 0x2710
	s_cselect_b32 s37, -1, 0
	s_and_b32 vcc_lo, exec_lo, s37
	s_cbranch_vccz .LBB4_355
.LBB4_352:                              ;   in Loop: Header=BB4_351 Depth=4
	s_and_not1_b32 s31, s31, exec_lo
	s_and_b32 s38, s38, exec_lo
	s_mov_b32 vcc_lo, -1
	s_or_b32 s31, s31, s38
	s_and_saveexec_b32 s38, s37
	s_cbranch_execz .LBB4_350
; %bb.353:                              ;   in Loop: Header=BB4_351 Depth=4
	s_sleep 1
	s_cbranch_execnz .LBB4_1670
; %bb.354:                              ;   in Loop: Header=BB4_351 Depth=4
	ds_load_b64 v[52:53], v0
	s_and_not1_b32 s31, s31, exec_lo
	s_waitcnt lgkmcnt(0)
	v_cmp_ge_u64_e32 vcc_lo, v[52:53], v[12:13]
	s_or_not1_b32 vcc_lo, vcc_lo, exec_lo
	s_branch .LBB4_350
.LBB4_355:                              ;   in Loop: Header=BB4_351 Depth=4
	s_cbranch_execnz .LBB4_1678
; %bb.356:                              ;   in Loop: Header=BB4_351 Depth=4
	ds_load_b64 v[52:53], v0
	s_and_not1_b32 s37, s37, exec_lo
	s_mov_b32 s34, 0
	s_mov_b32 s38, -1
	s_waitcnt lgkmcnt(0)
	flat_load_b32 v2, v[52:53] glc
	s_waitcnt vmcnt(0) lgkmcnt(0)
	buffer_gl1_inv
	buffer_gl0_inv
	v_cmp_eq_u32_e32 vcc_lo, 0, v2
	s_and_b32 vcc_lo, vcc_lo, exec_lo
	s_delay_alu instid0(SALU_CYCLE_1)
	s_or_b32 s37, s37, vcc_lo
	s_branch .LBB4_352
.LBB4_357:                              ;   in Loop: Header=BB4_310 Depth=3
	s_or_b32 exec_lo, exec_lo, s29
	s_and_saveexec_b32 s29, vcc_hi
	s_delay_alu instid0(SALU_CYCLE_1)
	s_xor_b32 s29, exec_lo, s29
	s_cbranch_execz .LBB4_359
; %bb.358:                              ;   in Loop: Header=BB4_310 Depth=3
	ds_store_b32 v0, v128
	s_cbranch_execnz .LBB4_1880
.LBB4_359:                              ;   in Loop: Header=BB4_310 Depth=3
	s_or_b32 exec_lo, exec_lo, s28
	;;#ASMSTART
	s_wakeup
	;;#ASMEND
.LBB4_360:                              ;   in Loop: Header=BB4_310 Depth=3
	s_or_b32 exec_lo, exec_lo, s20
.LBB4_361:                              ;   in Loop: Header=BB4_310 Depth=3
	s_and_not1_saveexec_b32 s4, s4
	s_cbranch_execz .LBB4_363
; %bb.362:                              ;   in Loop: Header=BB4_310 Depth=3
	s_waitcnt lgkmcnt(0)
	s_waitcnt_vscnt null, 0x0
	buffer_gl1_inv
	buffer_gl0_inv
	s_barrier
.LBB4_363:                              ;   in Loop: Header=BB4_310 Depth=3
	s_or_b32 exec_lo, exec_lo, s4
	s_mov_b32 s31, s13
	s_mov_b32 s34, s12
	;; [unrolled: 1-line block ×5, first 2 shown]
.LBB4_364:                              ;   in Loop: Header=BB4_310 Depth=3
	s_or_b32 exec_lo, exec_lo, s6
	s_cbranch_execnz .LBB4_1489
; %bb.365:                              ;   in Loop: Header=BB4_310 Depth=3
	ds_load_b32 v11, v0
	v_and_b32_e32 v2, 0x4000, v30
	s_mov_b32 s12, s13
	s_mov_b32 s5, s14
	s_delay_alu instid0(VALU_DEP_1) | instskip(SKIP_2) | instid1(SALU_CYCLE_1)
	v_cmp_ne_u32_e32 vcc_lo, 0, v2
	s_mov_b32 vcc_hi, s2
	s_xor_b32 s2, s2, -1
	s_and_b32 s2, s2, vcc_lo
	s_delay_alu instid0(SALU_CYCLE_1)
	s_and_saveexec_b32 s6, s2
	s_cbranch_execz .LBB4_387
; %bb.366:                              ;   in Loop: Header=BB4_310 Depth=3
	s_and_saveexec_b32 s2, s4
	s_delay_alu instid0(SALU_CYCLE_1)
	s_xor_b32 s2, exec_lo, s2
	s_cbranch_execz .LBB4_384
; %bb.367:                              ;   in Loop: Header=BB4_310 Depth=3
	s_and_saveexec_b32 s3, s1
	s_cbranch_execz .LBB4_383
; %bb.368:                              ;   in Loop: Header=BB4_310 Depth=3
	s_mov_b32 s14, exec_lo
	s_mov_b32 s13, exec_lo
	v_mbcnt_lo_u32_b32 v2, s14, 0
	s_waitcnt lgkmcnt(0)
	s_waitcnt_vscnt null, 0x0
	buffer_gl1_inv
	buffer_gl0_inv
	v_cmpx_eq_u32_e32 0, v2
	s_cbranch_execz .LBB4_370
; %bb.369:                              ;   in Loop: Header=BB4_310 Depth=3
	s_bcnt1_i32_b32 s14, s14
	s_delay_alu instid0(SALU_CYCLE_1)
	v_mov_b32_e32 v2, s14
	ds_add_u64 v0, v[2:3]
	s_cbranch_execnz .LBB4_1654
.LBB4_370:                              ;   in Loop: Header=BB4_310 Depth=3
	s_or_b32 exec_lo, exec_lo, s13
	s_cbranch_execnz .LBB4_1644
; %bb.371:                              ;   in Loop: Header=BB4_310 Depth=3
	ds_load_b64 v[52:53], v0
	v_add_co_u32 v12, vcc_lo, v12, v83
	v_add_co_ci_u32_e32 v13, vcc_lo, 0, v13, vcc_lo
	s_mov_b32 s13, exec_lo
	s_waitcnt lgkmcnt(0)
	s_delay_alu instid0(VALU_DEP_1)
	v_cmpx_lt_u64_e64 v[52:53], v[12:13]
	s_cbranch_execz .LBB4_382
; %bb.372:                              ;   in Loop: Header=BB4_310 Depth=3
	s_mov_b32 s14, 0
	s_mov_b32 s28, 0
                                        ; implicit-def: $sgpr15
                                        ; implicit-def: $sgpr20
	s_branch .LBB4_374
.LBB4_373:                              ;   in Loop: Header=BB4_374 Depth=4
	s_or_b32 exec_lo, exec_lo, s38
	s_delay_alu instid0(SALU_CYCLE_1) | instskip(NEXT) | instid1(SALU_CYCLE_1)
	s_and_b32 vcc_lo, exec_lo, vcc_lo
	s_or_b32 s14, vcc_lo, s14
	s_and_not1_b32 s15, s15, exec_lo
	s_and_b32 vcc_lo, s20, exec_lo
	s_delay_alu instid0(SALU_CYCLE_1)
	s_or_b32 s15, s15, vcc_lo
	s_and_not1_b32 exec_lo, exec_lo, s14
	s_cbranch_execz .LBB4_380
.LBB4_374:                              ;   Parent Loop BB4_51 Depth=1
                                        ;     Parent Loop BB4_308 Depth=2
                                        ;       Parent Loop BB4_310 Depth=3
                                        ; =>      This Inner Loop Header: Depth=4
	s_add_i32 s28, s28, 1
                                        ; implicit-def: $sgpr38
	s_delay_alu instid0(SALU_CYCLE_1) | instskip(SKIP_1) | instid1(SALU_CYCLE_1)
	s_cmpk_lg_i32 s28, 0x2710
	s_cselect_b32 s37, -1, 0
	s_and_b32 vcc_lo, exec_lo, s37
	s_cbranch_vccz .LBB4_378
.LBB4_375:                              ;   in Loop: Header=BB4_374 Depth=4
	s_and_not1_b32 s20, s20, exec_lo
	s_and_b32 s38, s38, exec_lo
	s_mov_b32 vcc_lo, -1
	s_or_b32 s20, s20, s38
	s_and_saveexec_b32 s38, s37
	s_cbranch_execz .LBB4_373
; %bb.376:                              ;   in Loop: Header=BB4_374 Depth=4
	s_sleep 1
	s_cbranch_execnz .LBB4_1718
; %bb.377:                              ;   in Loop: Header=BB4_374 Depth=4
	ds_load_b64 v[52:53], v0
	s_and_not1_b32 s20, s20, exec_lo
	s_waitcnt lgkmcnt(0)
	v_cmp_ge_u64_e32 vcc_lo, v[52:53], v[12:13]
	s_or_not1_b32 vcc_lo, vcc_lo, exec_lo
	s_branch .LBB4_373
.LBB4_378:                              ;   in Loop: Header=BB4_374 Depth=4
	s_cbranch_execnz .LBB4_1730
; %bb.379:                              ;   in Loop: Header=BB4_374 Depth=4
	ds_load_b64 v[52:53], v0
	s_and_not1_b32 s37, s37, exec_lo
	s_mov_b32 s28, 0
	s_mov_b32 s38, -1
	s_waitcnt lgkmcnt(0)
	flat_load_b32 v2, v[52:53] glc
	s_waitcnt vmcnt(0) lgkmcnt(0)
	buffer_gl1_inv
	buffer_gl0_inv
	v_cmp_eq_u32_e32 vcc_lo, 0, v2
	s_and_b32 vcc_lo, vcc_lo, exec_lo
	s_delay_alu instid0(SALU_CYCLE_1)
	s_or_b32 s37, s37, vcc_lo
	s_branch .LBB4_375
.LBB4_380:                              ;   in Loop: Header=BB4_310 Depth=3
	s_or_b32 exec_lo, exec_lo, s14
	s_and_saveexec_b32 s14, s15
	s_delay_alu instid0(SALU_CYCLE_1)
	s_xor_b32 s14, exec_lo, s14
	s_cbranch_execz .LBB4_382
; %bb.381:                              ;   in Loop: Header=BB4_310 Depth=3
	ds_store_b32 v0, v128
	s_cbranch_execnz .LBB4_1912
.LBB4_382:                              ;   in Loop: Header=BB4_310 Depth=3
	s_or_b32 exec_lo, exec_lo, s13
	;;#ASMSTART
	s_wakeup
	;;#ASMEND
.LBB4_383:                              ;   in Loop: Header=BB4_310 Depth=3
	s_or_b32 exec_lo, exec_lo, s3
.LBB4_384:                              ;   in Loop: Header=BB4_310 Depth=3
	s_and_not1_saveexec_b32 s2, s2
	s_cbranch_execz .LBB4_386
; %bb.385:                              ;   in Loop: Header=BB4_310 Depth=3
	s_waitcnt lgkmcnt(0)
	s_waitcnt_vscnt null, 0x0
	buffer_gl1_inv
	buffer_gl0_inv
	s_barrier
.LBB4_386:                              ;   in Loop: Header=BB4_310 Depth=3
	s_or_b32 exec_lo, exec_lo, s2
.LBB4_387:                              ;   in Loop: Header=BB4_310 Depth=3
	s_delay_alu instid0(SALU_CYCLE_1)
	s_or_b32 exec_lo, exec_lo, s6
	s_cbranch_execnz .LBB4_1532
; %bb.388:                              ;   in Loop: Header=BB4_310 Depth=3
	ds_load_b64 v[52:53], v0
	v_mov_b32_e32 v9, 0
	s_waitcnt lgkmcnt(0)
	v_cmp_eq_u64_e32 vcc_lo, 0, v[52:53]
	s_or_b32 s2, vcc_lo, vcc_lo
	s_delay_alu instid0(SALU_CYCLE_1)
	s_and_b32 vcc_lo, exec_lo, s2
	s_cbranch_vccnz .LBB4_427
; %bb.389:                              ;   in Loop: Header=BB4_310 Depth=3
	s_cbranch_execnz .LBB4_1586
; %bb.390:                              ;   in Loop: Header=BB4_310 Depth=3
	ds_load_b64 v[52:53], v0
	s_mov_b32 s2, -1
	s_mov_b32 s3, exec_lo
	v_readlane_b32 s6, v42, 5
	s_delay_alu instid0(VALU_DEP_1) | instskip(NEXT) | instid1(SALU_CYCLE_1)
	s_and_b32 s6, s3, s6
	s_mov_b32 exec_lo, s6
	s_cbranch_execz .LBB4_392
; %bb.391:                              ;   in Loop: Header=BB4_310 Depth=3
	ds_load_b32 v2, v0 offset:720
	s_waitcnt lgkmcnt(0)
	v_and_b32_e32 v2, 15, v2
	s_delay_alu instid0(VALU_DEP_1)
	v_cmp_eq_u32_e32 vcc_lo, 0, v2
	s_or_not1_b32 s2, vcc_lo, exec_lo
.LBB4_392:                              ;   in Loop: Header=BB4_310 Depth=3
	s_or_b32 exec_lo, exec_lo, s3
	s_delay_alu instid0(SALU_CYCLE_1) | instskip(SKIP_1) | instid1(VALU_DEP_1)
	s_mov_b32 s3, exec_lo
	v_readlane_b32 s6, v42, 3
	s_and_b32 s6, s3, s6
	s_delay_alu instid0(SALU_CYCLE_1)
	s_mov_b32 exec_lo, s6
	s_cbranch_execz .LBB4_394
; %bb.393:                              ;   in Loop: Header=BB4_310 Depth=3
	ds_load_b32 v2, v0 offset:784
	s_waitcnt lgkmcnt(0)
	v_and_b32_e32 v2, 15, v2
	s_delay_alu instid0(VALU_DEP_1) | instskip(SKIP_3) | instid1(SALU_CYCLE_1)
	v_cmp_eq_u32_e32 vcc_lo, 0, v2
	s_and_b32 s6, s2, vcc_lo
	s_and_not1_b32 s2, s2, exec_lo
	s_and_b32 s6, s6, exec_lo
	s_or_b32 s2, s2, s6
.LBB4_394:                              ;   in Loop: Header=BB4_310 Depth=3
	s_or_b32 exec_lo, exec_lo, s3
	v_cmp_eq_u32_e32 vcc_lo, 0, v11
	s_xor_b32 s2, s2, -1
	s_waitcnt lgkmcnt(0)
	v_and_b32_e32 v52, 1, v52
	v_cndmask_b32_e64 v2, 0, 1, s2
	;;#ASMSTART
	;;#ASMEND
	v_cndmask_b32_e32 v9, 0, v8, vcc_lo
	s_delay_alu instid0(VALU_DEP_2) | instskip(SKIP_1) | instid1(VALU_DEP_2)
	v_cmp_ne_u32_e32 vcc_lo, 0, v2
	s_mov_b32 s2, -1
	v_lshlrev_b32_e32 v2, 3, v9
	s_cbranch_vccz .LBB4_396
; %bb.395:                              ;   in Loop: Header=BB4_310 Depth=3
	v_cmp_eq_u32_e64 s13, 1, v52
	s_mov_b32 s2, 0
	s_mov_b32 s6, -1
	s_mov_b32 s3, 0
	s_branch .LBB4_397
.LBB4_396:                              ;   in Loop: Header=BB4_310 Depth=3
	s_mov_b32 s6, 0
                                        ; implicit-def: $sgpr3
                                        ; implicit-def: $sgpr13
.LBB4_397:                              ;   in Loop: Header=BB4_310 Depth=3
	s_and_not1_b32 vcc_lo, exec_lo, s2
	s_cbranch_vccnz .LBB4_413
; %bb.398:                              ;   in Loop: Header=BB4_310 Depth=3
	v_ashrrev_i32_e32 v11, 31, v2
	v_cmp_eq_u32_e64 s13, 1, v52
	s_mov_b32 s2, exec_lo
	s_delay_alu instid0(VALU_DEP_2) | instskip(NEXT) | instid1(VALU_DEP_1)
	v_lshrrev_b32_e32 v11, 22, v11
	v_add_nc_u32_e32 v11, v2, v11
	s_delay_alu instid0(VALU_DEP_1) | instskip(NEXT) | instid1(VALU_DEP_1)
	v_ashrrev_i32_e32 v11, 10, v11
	v_sub_nc_u32_e32 v69, v11, v84
	s_delay_alu instid0(VALU_DEP_1)
	v_cmpx_lt_i32_e32 0, v69
	s_cbranch_execz .LBB4_403
; %bb.399:                              ;   in Loop: Header=BB4_310 Depth=3
	s_cbranch_execnz .LBB4_1708
; %bb.400:                              ;   in Loop: Header=BB4_310 Depth=3
	ds_load_b128 v[52:55], v0
	ds_load_b64 v[64:65], v0
	s_mov_b32 s3, 0
	s_waitcnt lgkmcnt(1)
	v_add_co_u32 v52, vcc_lo, v52, v116
	v_add_co_ci_u32_e32 v53, vcc_lo, v53, v117, vcc_lo
	v_add_co_u32 v54, vcc_lo, v54, v116
	v_add_co_ci_u32_e32 v55, vcc_lo, v55, v117, vcc_lo
	s_waitcnt lgkmcnt(0)
	v_add_co_u32 v64, vcc_lo, v64, v116
	v_add_co_ci_u32_e32 v65, vcc_lo, v65, v117, vcc_lo
.LBB4_401:                              ;   Parent Loop BB4_51 Depth=1
                                        ;     Parent Loop BB4_308 Depth=2
                                        ;       Parent Loop BB4_310 Depth=3
                                        ; =>      This Inner Loop Header: Depth=4
	global_load_b128 v[129:132], v[54:55], off slc dlc
	global_load_b128 v[144:147], v[52:53], off slc dlc
	global_load_b128 v[148:151], v[54:55], off offset:512 slc dlc
	global_load_b128 v[160:163], v[52:53], off offset:512 slc dlc
	v_add_co_u32 v52, vcc_lo, v52, v118
	v_sub_nc_u32_e32 v69, v69, v83
	v_add_co_ci_u32_e32 v53, vcc_lo, v53, v119, vcc_lo
	v_add_co_u32 v54, vcc_lo, v54, v118
	v_add_co_ci_u32_e32 v55, vcc_lo, v55, v119, vcc_lo
	s_delay_alu instid0(VALU_DEP_4)
	v_cmp_gt_i32_e32 vcc_lo, 1, v69
	s_or_b32 s3, vcc_lo, s3
	s_waitcnt vmcnt(3)
	v_max_f64 v[67:68], v[129:130], v[129:130]
	s_waitcnt vmcnt(2)
	v_max_f64 v[70:71], v[144:145], v[144:145]
	v_max_f64 v[129:130], v[131:132], v[131:132]
	;; [unrolled: 1-line block ×3, first 2 shown]
	s_waitcnt vmcnt(1)
	v_max_f64 v[133:134], v[148:149], v[148:149]
	s_waitcnt vmcnt(0)
	v_max_f64 v[144:145], v[160:161], v[160:161]
	v_max_f64 v[146:147], v[150:151], v[150:151]
	;; [unrolled: 1-line block ×3, first 2 shown]
	v_min_f64 v[150:151], v[70:71], v[67:68]
	v_max_f64 v[67:68], v[70:71], v[67:68]
	v_min_f64 v[70:71], v[131:132], v[129:130]
	v_max_f64 v[131:132], v[131:132], v[129:130]
	;; [unrolled: 2-line block ×4, first 2 shown]
	v_cndmask_b32_e64 v130, v151, v68, s13
	v_cndmask_b32_e64 v129, v150, v67, s13
	;; [unrolled: 1-line block ×8, first 2 shown]
	s_clause 0x1
	global_store_b128 v[64:65], v[129:132], off glc slc dlc
	global_store_b128 v[64:65], v[144:147], off offset:512 glc slc dlc
	v_add_co_u32 v64, s14, v64, v118
	s_delay_alu instid0(VALU_DEP_1)
	v_add_co_ci_u32_e64 v65, s14, v65, v119, s14
	s_and_not1_b32 exec_lo, exec_lo, s3
	s_cbranch_execnz .LBB4_401
; %bb.402:                              ;   in Loop: Header=BB4_310 Depth=3
	s_or_b32 exec_lo, exec_lo, s3
.LBB4_403:                              ;   in Loop: Header=BB4_310 Depth=3
	s_delay_alu instid0(SALU_CYCLE_1) | instskip(SKIP_2) | instid1(VALU_DEP_1)
	s_or_b32 exec_lo, exec_lo, s2
	v_lshlrev_b32_e32 v68, 10, v11
	s_mov_b32 s2, exec_lo
                                        ; implicit-def: $vgpr11
                                        ; implicit-def: $vgpr67
                                        ; implicit-def: $vgpr52
	v_cmpx_ne_u32_e64 v2, v68
	s_cbranch_execz .LBB4_412
; %bb.404:                              ;   in Loop: Header=BB4_310 Depth=3
	v_lshlrev_b32_e32 v11, 5, v69
	v_sub_nc_u32_e32 v53, v2, v68
	s_mov_b32 s3, exec_lo
	s_delay_alu instid0(VALU_DEP_2) | instskip(NEXT) | instid1(VALU_DEP_2)
	v_sub_nc_u32_e32 v11, v85, v11
	v_ashrrev_i32_e32 v54, 31, v53
	s_delay_alu instid0(VALU_DEP_2) | instskip(NEXT) | instid1(VALU_DEP_2)
	v_ashrrev_i32_e32 v52, 31, v11
	v_lshrrev_b32_e32 v54, 23, v54
	s_delay_alu instid0(VALU_DEP_2) | instskip(NEXT) | instid1(VALU_DEP_2)
	v_lshrrev_b32_e32 v52, 27, v52
	v_add_nc_u32_e32 v54, v53, v54
	s_delay_alu instid0(VALU_DEP_2) | instskip(NEXT) | instid1(VALU_DEP_2)
	v_add_nc_u32_e32 v52, v11, v52
	v_and_b32_e32 v69, 0xfffffe00, v54
	v_ashrrev_i32_e32 v54, 9, v54
	s_delay_alu instid0(VALU_DEP_3) | instskip(NEXT) | instid1(VALU_DEP_3)
	v_and_b32_e32 v55, 0xffffffe0, v52
	v_sub_nc_u32_e32 v71, v53, v69
	s_delay_alu instid0(VALU_DEP_2) | instskip(SKIP_1) | instid1(VALU_DEP_3)
	v_sub_nc_u32_e32 v70, v11, v55
	v_ashrrev_i32_e32 v55, 5, v52
	v_cmp_lt_i32_e32 vcc_lo, 15, v71
	s_delay_alu instid0(VALU_DEP_3) | instskip(SKIP_1) | instid1(VALU_DEP_2)
	v_lshlrev_b32_e32 v11, 4, v70
	v_add_co_ci_u32_e64 v54, s14, 0, v54, vcc_lo
	v_lshl_add_u32 v52, v55, 9, v11
	s_delay_alu instid0(VALU_DEP_2) | instskip(NEXT) | instid1(VALU_DEP_2)
	v_sub_nc_u32_e32 v129, v54, v55
	v_sub_nc_u32_e32 v11, v53, v52
	s_delay_alu instid0(VALU_DEP_1)
	v_cmpx_lt_i32_e32 15, v11
	s_cbranch_execz .LBB4_409
; %bb.405:                              ;   in Loop: Header=BB4_310 Depth=3
	s_cbranch_execnz .LBB4_1770
; %bb.406:                              ;   in Loop: Header=BB4_310 Depth=3
	ds_load_b128 v[130:133], v0
	ds_load_b64 v[64:65], v0
	v_add_nc_u32_e32 v67, v52, v68
	s_mov_b32 s20, 0
	s_delay_alu instid0(VALU_DEP_1) | instskip(SKIP_2) | instid1(VALU_DEP_1)
	v_ashrrev_i32_e32 v134, 31, v67
	s_waitcnt lgkmcnt(1)
	v_add_co_u32 v52, s14, v130, v67
	v_add_co_ci_u32_e64 v53, s14, v131, v134, s14
	v_add_co_u32 v54, s14, v132, v67
	s_delay_alu instid0(VALU_DEP_1) | instskip(SKIP_2) | instid1(VALU_DEP_1)
	v_add_co_ci_u32_e64 v55, s14, v133, v134, s14
	s_waitcnt lgkmcnt(0)
	v_add_co_u32 v64, s14, v64, v67
	v_add_co_ci_u32_e64 v65, s14, v65, v134, s14
.LBB4_407:                              ;   Parent Loop BB4_51 Depth=1
                                        ;     Parent Loop BB4_308 Depth=2
                                        ;       Parent Loop BB4_310 Depth=3
                                        ; =>      This Inner Loop Header: Depth=4
	global_load_b128 v[130:133], v[54:55], off slc dlc
	global_load_b128 v[144:147], v[52:53], off slc dlc
	v_add_co_u32 v52, s14, v52, v103
	v_sub_nc_u32_e32 v11, v11, v87
	v_add_co_ci_u32_e64 v53, s14, v53, v112, s14
	v_add_co_u32 v54, s14, v54, v103
	s_delay_alu instid0(VALU_DEP_1) | instskip(NEXT) | instid1(VALU_DEP_4)
	v_add_co_ci_u32_e64 v55, s14, v55, v112, s14
	v_cmp_gt_i32_e64 s14, 16, v11
	v_sub_nc_u32_e32 v129, v129, v83
	s_delay_alu instid0(VALU_DEP_2)
	s_or_b32 s20, s14, s20
	s_waitcnt vmcnt(1)
	v_max_f64 v[130:131], v[130:131], v[130:131]
	s_waitcnt vmcnt(0)
	v_max_f64 v[134:135], v[144:145], v[144:145]
	v_max_f64 v[132:133], v[132:133], v[132:133]
	;; [unrolled: 1-line block ×3, first 2 shown]
	s_delay_alu instid0(VALU_DEP_3) | instskip(SKIP_1) | instid1(VALU_DEP_3)
	v_min_f64 v[146:147], v[134:135], v[130:131]
	v_max_f64 v[130:131], v[134:135], v[130:131]
	v_min_f64 v[134:135], v[144:145], v[132:133]
	v_max_f64 v[132:133], v[144:145], v[132:133]
	s_delay_alu instid0(VALU_DEP_3) | instskip(NEXT) | instid1(VALU_DEP_4)
	v_cndmask_b32_e64 v131, v147, v131, s13
	v_cndmask_b32_e64 v130, v146, v130, s13
	s_delay_alu instid0(VALU_DEP_3) | instskip(NEXT) | instid1(VALU_DEP_4)
	v_cndmask_b32_e64 v133, v135, v133, s13
	v_cndmask_b32_e64 v132, v134, v132, s13
	global_store_b128 v[64:65], v[130:133], off glc slc dlc
	v_add_co_u32 v64, s15, v64, v103
	s_delay_alu instid0(VALU_DEP_1)
	v_add_co_ci_u32_e64 v65, s15, v65, v112, s15
	s_and_not1_b32 exec_lo, exec_lo, s20
	s_cbranch_execnz .LBB4_407
; %bb.408:                              ;   in Loop: Header=BB4_310 Depth=3
	s_or_b32 exec_lo, exec_lo, s20
.LBB4_409:                              ;   in Loop: Header=BB4_310 Depth=3
	s_delay_alu instid0(SALU_CYCLE_1) | instskip(SKIP_3) | instid1(VALU_DEP_1)
	s_or_b32 exec_lo, exec_lo, s3
	v_and_b32_e32 v53, 8, v2
	s_mov_b32 s3, s6
	s_mov_b32 s15, exec_lo
                                        ; implicit-def: $vgpr11
                                        ; implicit-def: $vgpr67
                                        ; implicit-def: $vgpr52
	v_cndmask_b32_e32 v2, v71, v53, vcc_lo
	s_delay_alu instid0(VALU_DEP_1)
	v_cmpx_ne_u32_e32 0, v2
; %bb.410:                              ;   in Loop: Header=BB4_310 Depth=3
	v_cmp_lt_i32_e64 s14, 0, v129
	v_sub_nc_u32_e32 v52, v71, v53
	s_or_b32 s3, s6, exec_lo
	s_delay_alu instid0(VALU_DEP_2) | instskip(NEXT) | instid1(VALU_DEP_1)
	v_cndmask_b32_e64 v11, 0, v83, s14
	v_sub_nc_u32_e32 v11, v11, v129
	s_delay_alu instid0(VALU_DEP_1) | instskip(NEXT) | instid1(VALU_DEP_1)
	v_lshl_add_u32 v67, v11, 5, v70
	v_ashrrev_i32_e32 v11, 31, v67
	s_delay_alu instid0(VALU_DEP_1) | instskip(NEXT) | instid1(VALU_DEP_1)
	v_lshrrev_b32_e32 v11, 27, v11
	v_dual_cndmask_b32 v52, 0, v52 :: v_dual_add_nc_u32 v53, v67, v11
	s_delay_alu instid0(VALU_DEP_1) | instskip(NEXT) | instid1(VALU_DEP_2)
	v_add3_u32 v11, v69, v68, v52
	v_ashrrev_i32_e32 v52, 5, v53
; %bb.411:                              ;   in Loop: Header=BB4_310 Depth=3
	s_or_b32 exec_lo, exec_lo, s15
	s_delay_alu instid0(SALU_CYCLE_1) | instskip(SKIP_1) | instid1(SALU_CYCLE_1)
	s_and_not1_b32 s6, s6, exec_lo
	s_and_b32 s3, s3, exec_lo
	s_or_b32 s6, s6, s3
.LBB4_412:                              ;   in Loop: Header=BB4_310 Depth=3
	s_or_b32 exec_lo, exec_lo, s2
	s_branch .LBB4_414
.LBB4_413:                              ;   in Loop: Header=BB4_310 Depth=3
	v_dual_mov_b32 v11, s3 :: v_dual_mov_b32 v52, v84
	v_mov_b32_e32 v67, v0
.LBB4_414:                              ;   in Loop: Header=BB4_310 Depth=3
	s_and_saveexec_b32 s15, s6
	s_cbranch_execz .LBB4_426
; %bb.415:                              ;   in Loop: Header=BB4_310 Depth=3
	v_ashrrev_i32_e32 v53, 31, v2
	s_mov_b32 s2, exec_lo
	s_delay_alu instid0(VALU_DEP_1) | instskip(NEXT) | instid1(VALU_DEP_1)
	v_lshrrev_b32_e32 v53, 23, v53
	v_add_nc_u32_e32 v53, v2, v53
	s_delay_alu instid0(VALU_DEP_1) | instskip(NEXT) | instid1(VALU_DEP_1)
	v_ashrrev_i32_e32 v69, 9, v53
	v_sub_nc_u32_e32 v68, v69, v52
	s_delay_alu instid0(VALU_DEP_1)
	v_cmpx_lt_i32_e32 0, v68
	s_cbranch_execz .LBB4_420
; %bb.416:                              ;   in Loop: Header=BB4_310 Depth=3
	s_cbranch_execnz .LBB4_1720
; %bb.417:                              ;   in Loop: Header=BB4_310 Depth=3
	v_ashrrev_i32_e32 v53, 31, v67
	ds_load_b128 v[129:132], v0
	ds_load_b64 v[64:65], v0
	v_lshlrev_b32_e32 v52, 9, v52
	s_mov_b32 s3, 0
	v_lshrrev_b32_e32 v53, 27, v53
	s_delay_alu instid0(VALU_DEP_1) | instskip(NEXT) | instid1(VALU_DEP_1)
	v_add_nc_u32_e32 v53, v67, v53
	v_and_b32_e32 v53, 0x1fffffe0, v53
	s_delay_alu instid0(VALU_DEP_1) | instskip(NEXT) | instid1(VALU_DEP_1)
	v_sub_nc_u32_e32 v53, v67, v53
	v_lshlrev_b32_e32 v53, 3, v53
	s_delay_alu instid0(VALU_DEP_1) | instskip(NEXT) | instid1(VALU_DEP_1)
	v_add3_u32 v70, v53, v11, v52
	v_ashrrev_i32_e32 v71, 31, v70
	s_waitcnt lgkmcnt(1)
	v_add_co_u32 v52, vcc_lo, v129, v70
	s_delay_alu instid0(VALU_DEP_2)
	v_add_co_ci_u32_e32 v53, vcc_lo, v130, v71, vcc_lo
	v_add_co_u32 v54, vcc_lo, v131, v70
	v_add_co_ci_u32_e32 v55, vcc_lo, v132, v71, vcc_lo
	s_waitcnt lgkmcnt(0)
	v_add_co_u32 v64, vcc_lo, v64, v70
	v_add_co_ci_u32_e32 v65, vcc_lo, v65, v71, vcc_lo
.LBB4_418:                              ;   Parent Loop BB4_51 Depth=1
                                        ;     Parent Loop BB4_308 Depth=2
                                        ;       Parent Loop BB4_310 Depth=3
                                        ; =>      This Inner Loop Header: Depth=4
	flat_load_b64 v[70:71], v[54:55] slc dlc
	flat_load_b64 v[129:130], v[52:53] slc dlc
	flat_load_b64 v[131:132], v[54:55] offset:256 slc dlc
	flat_load_b64 v[133:134], v[52:53] offset:256 slc dlc
	v_add_co_u32 v52, vcc_lo, v52, v103
	v_sub_nc_u32_e32 v68, v68, v83
	v_add_co_ci_u32_e32 v53, vcc_lo, v53, v112, vcc_lo
	v_add_co_u32 v54, vcc_lo, v54, v103
	v_add_co_ci_u32_e32 v55, vcc_lo, v55, v112, vcc_lo
	s_delay_alu instid0(VALU_DEP_4)
	v_cmp_gt_i32_e32 vcc_lo, 1, v68
	s_or_b32 s3, vcc_lo, s3
	s_waitcnt vmcnt(3) lgkmcnt(3)
	v_max_f64 v[70:71], v[70:71], v[70:71]
	s_waitcnt vmcnt(2) lgkmcnt(2)
	v_max_f64 v[129:130], v[129:130], v[129:130]
	;; [unrolled: 2-line block ×4, first 2 shown]
	s_delay_alu instid0(VALU_DEP_3) | instskip(SKIP_1) | instid1(VALU_DEP_3)
	v_min_f64 v[144:145], v[129:130], v[70:71]
	v_max_f64 v[70:71], v[129:130], v[70:71]
	v_min_f64 v[129:130], v[133:134], v[131:132]
	v_max_f64 v[131:132], v[133:134], v[131:132]
	s_delay_alu instid0(VALU_DEP_3) | instskip(NEXT) | instid1(VALU_DEP_4)
	v_cndmask_b32_e64 v71, v145, v71, s13
	v_cndmask_b32_e64 v70, v144, v70, s13
	s_delay_alu instid0(VALU_DEP_3) | instskip(NEXT) | instid1(VALU_DEP_4)
	v_cndmask_b32_e64 v130, v130, v132, s13
	v_cndmask_b32_e64 v129, v129, v131, s13
	s_clause 0x1
	flat_store_b64 v[64:65], v[70:71] glc slc dlc
	flat_store_b64 v[64:65], v[129:130] offset:256 glc slc dlc
	v_add_co_u32 v64, s14, v64, v103
	s_delay_alu instid0(VALU_DEP_1)
	v_add_co_ci_u32_e64 v65, s14, v65, v112, s14
	s_and_not1_b32 exec_lo, exec_lo, s3
	s_cbranch_execnz .LBB4_418
; %bb.419:                              ;   in Loop: Header=BB4_310 Depth=3
	s_or_b32 exec_lo, exec_lo, s3
.LBB4_420:                              ;   in Loop: Header=BB4_310 Depth=3
	s_delay_alu instid0(SALU_CYCLE_1) | instskip(SKIP_2) | instid1(VALU_DEP_1)
	s_or_b32 exec_lo, exec_lo, s2
	v_lshlrev_b32_e32 v52, 9, v69
	s_mov_b32 s2, exec_lo
	v_cmpx_ne_u32_e64 v2, v52
	s_cbranch_execz .LBB4_425
; %bb.421:                              ;   in Loop: Header=BB4_310 Depth=3
	v_ashrrev_i32_e32 v53, 31, v67
	v_lshlrev_b32_e32 v54, 5, v68
	s_delay_alu instid0(VALU_DEP_2) | instskip(NEXT) | instid1(VALU_DEP_1)
	v_lshrrev_b32_e32 v53, 27, v53
	v_add_nc_u32_e32 v53, v67, v53
	s_delay_alu instid0(VALU_DEP_1) | instskip(NEXT) | instid1(VALU_DEP_1)
	v_and_b32_e32 v53, 0xffffffe0, v53
	v_sub_nc_u32_e32 v53, v67, v53
	s_delay_alu instid0(VALU_DEP_1) | instskip(NEXT) | instid1(VALU_DEP_1)
	v_sub_nc_u32_e32 v53, v53, v54
	v_ashrrev_i32_e32 v54, 31, v53
	s_delay_alu instid0(VALU_DEP_1) | instskip(NEXT) | instid1(VALU_DEP_1)
	v_lshrrev_b32_e32 v54, 27, v54
	v_add_nc_u32_e32 v54, v53, v54
	s_delay_alu instid0(VALU_DEP_1) | instskip(SKIP_1) | instid1(VALU_DEP_2)
	v_and_b32_e32 v55, 0x1fffffe0, v54
	v_lshlrev_b32_e32 v54, 3, v54
	v_sub_nc_u32_e32 v53, v53, v55
	s_delay_alu instid0(VALU_DEP_2) | instskip(NEXT) | instid1(VALU_DEP_2)
	v_and_b32_e32 v54, 0xffffff00, v54
	v_lshlrev_b32_e32 v53, 3, v53
	s_delay_alu instid0(VALU_DEP_1) | instskip(NEXT) | instid1(VALU_DEP_1)
	v_add3_u32 v52, v54, v53, v52
	v_sub_nc_u32_e32 v2, v2, v52
	s_delay_alu instid0(VALU_DEP_1)
	v_cmp_lt_i32_e32 vcc_lo, 7, v2
	s_and_b32 exec_lo, exec_lo, vcc_lo
	s_cbranch_execz .LBB4_425
; %bb.422:                              ;   in Loop: Header=BB4_310 Depth=3
	s_cbranch_execnz .LBB4_1774
; %bb.423:                              ;   in Loop: Header=BB4_310 Depth=3
	ds_load_b128 v[67:70], v0
	ds_load_b64 v[64:65], v0
	v_add_nc_u32_e32 v11, v52, v11
	s_mov_b32 s3, 0
	s_delay_alu instid0(VALU_DEP_1) | instskip(SKIP_2) | instid1(VALU_DEP_2)
	v_ashrrev_i32_e32 v71, 31, v11
	s_waitcnt lgkmcnt(1)
	v_add_co_u32 v52, vcc_lo, v67, v11
	v_add_co_ci_u32_e32 v53, vcc_lo, v68, v71, vcc_lo
	v_add_co_u32 v54, vcc_lo, v69, v11
	v_add_co_ci_u32_e32 v55, vcc_lo, v70, v71, vcc_lo
	s_waitcnt lgkmcnt(0)
	v_add_co_u32 v64, vcc_lo, v64, v11
	v_add_co_ci_u32_e32 v65, vcc_lo, v65, v71, vcc_lo
	s_set_inst_prefetch_distance 0x1
.LBB4_424:                              ;   Parent Loop BB4_51 Depth=1
                                        ;     Parent Loop BB4_308 Depth=2
                                        ;       Parent Loop BB4_310 Depth=3
                                        ; =>      This Inner Loop Header: Depth=4
	flat_load_b64 v[67:68], v[54:55] slc dlc
	flat_load_b64 v[69:70], v[52:53] slc dlc
	v_add_co_u32 v52, vcc_lo, v52, v114
	v_sub_nc_u32_e32 v2, v2, v98
	v_add_co_ci_u32_e32 v53, vcc_lo, v53, v115, vcc_lo
	v_add_co_u32 v54, vcc_lo, v54, v114
	v_add_co_ci_u32_e32 v55, vcc_lo, v55, v115, vcc_lo
	s_delay_alu instid0(VALU_DEP_4)
	v_cmp_gt_i32_e32 vcc_lo, 8, v2
	s_or_b32 s3, vcc_lo, s3
	s_waitcnt vmcnt(1) lgkmcnt(1)
	v_max_f64 v[67:68], v[67:68], v[67:68]
	s_waitcnt vmcnt(0) lgkmcnt(0)
	v_max_f64 v[69:70], v[69:70], v[69:70]
	s_delay_alu instid0(VALU_DEP_1) | instskip(SKIP_1) | instid1(VALU_DEP_1)
	v_min_f64 v[129:130], v[69:70], v[67:68]
	v_max_f64 v[67:68], v[69:70], v[67:68]
	v_cndmask_b32_e64 v68, v130, v68, s13
	s_delay_alu instid0(VALU_DEP_2) | instskip(SKIP_2) | instid1(VALU_DEP_1)
	v_cndmask_b32_e64 v67, v129, v67, s13
	flat_store_b64 v[64:65], v[67:68] glc slc dlc
	v_add_co_u32 v64, s14, v64, v114
	v_add_co_ci_u32_e64 v65, s14, v65, v115, s14
	s_and_not1_b32 exec_lo, exec_lo, s3
	s_cbranch_execnz .LBB4_424
.LBB4_425:                              ;   in Loop: Header=BB4_310 Depth=3
	s_set_inst_prefetch_distance 0x2
	s_or_b32 exec_lo, exec_lo, s2
.LBB4_426:                              ;   in Loop: Header=BB4_310 Depth=3
	s_delay_alu instid0(SALU_CYCLE_1)
	s_or_b32 exec_lo, exec_lo, s15
.LBB4_427:                              ;   in Loop: Header=BB4_310 Depth=3
	s_and_saveexec_b32 s6, s36
	s_cbranch_execz .LBB4_449
; %bb.428:                              ;   in Loop: Header=BB4_310 Depth=3
	s_and_saveexec_b32 s2, s4
	s_delay_alu instid0(SALU_CYCLE_1)
	s_xor_b32 s2, exec_lo, s2
	s_cbranch_execz .LBB4_446
; %bb.429:                              ;   in Loop: Header=BB4_310 Depth=3
	s_and_saveexec_b32 s3, s1
	s_cbranch_execz .LBB4_445
; %bb.430:                              ;   in Loop: Header=BB4_310 Depth=3
	s_mov_b32 s14, exec_lo
	s_mov_b32 s13, exec_lo
	v_mbcnt_lo_u32_b32 v2, s14, 0
	s_waitcnt lgkmcnt(0)
	s_waitcnt_vscnt null, 0x0
	buffer_gl1_inv
	buffer_gl0_inv
	v_cmpx_eq_u32_e32 0, v2
	s_cbranch_execz .LBB4_432
; %bb.431:                              ;   in Loop: Header=BB4_310 Depth=3
	s_bcnt1_i32_b32 s14, s14
	s_delay_alu instid0(SALU_CYCLE_1)
	v_mov_b32_e32 v2, s14
	ds_add_u64 v0, v[2:3]
	s_cbranch_execnz .LBB4_1734
.LBB4_432:                              ;   in Loop: Header=BB4_310 Depth=3
	s_or_b32 exec_lo, exec_lo, s13
	s_cbranch_execnz .LBB4_1704
; %bb.433:                              ;   in Loop: Header=BB4_310 Depth=3
	ds_load_b64 v[52:53], v0
	v_add_co_u32 v12, vcc_lo, v12, v83
	v_add_co_ci_u32_e32 v13, vcc_lo, 0, v13, vcc_lo
	s_mov_b32 s13, exec_lo
	s_waitcnt lgkmcnt(0)
	s_delay_alu instid0(VALU_DEP_1)
	v_cmpx_lt_u64_e64 v[52:53], v[12:13]
	s_cbranch_execz .LBB4_444
; %bb.434:                              ;   in Loop: Header=BB4_310 Depth=3
	s_mov_b32 s14, 0
	s_mov_b32 s28, 0
                                        ; implicit-def: $sgpr15
                                        ; implicit-def: $sgpr20
	s_branch .LBB4_436
.LBB4_435:                              ;   in Loop: Header=BB4_436 Depth=4
	s_or_b32 exec_lo, exec_lo, s38
	s_delay_alu instid0(SALU_CYCLE_1) | instskip(NEXT) | instid1(SALU_CYCLE_1)
	s_and_b32 vcc_lo, exec_lo, vcc_lo
	s_or_b32 s14, vcc_lo, s14
	s_and_not1_b32 s15, s15, exec_lo
	s_and_b32 vcc_lo, s20, exec_lo
	s_delay_alu instid0(SALU_CYCLE_1)
	s_or_b32 s15, s15, vcc_lo
	s_and_not1_b32 exec_lo, exec_lo, s14
	s_cbranch_execz .LBB4_442
.LBB4_436:                              ;   Parent Loop BB4_51 Depth=1
                                        ;     Parent Loop BB4_308 Depth=2
                                        ;       Parent Loop BB4_310 Depth=3
                                        ; =>      This Inner Loop Header: Depth=4
	s_add_i32 s28, s28, 1
                                        ; implicit-def: $sgpr38
	s_delay_alu instid0(SALU_CYCLE_1) | instskip(SKIP_1) | instid1(SALU_CYCLE_1)
	s_cmpk_lg_i32 s28, 0x2710
	s_cselect_b32 s37, -1, 0
	s_and_b32 vcc_lo, exec_lo, s37
	s_cbranch_vccz .LBB4_440
.LBB4_437:                              ;   in Loop: Header=BB4_436 Depth=4
	s_and_not1_b32 s20, s20, exec_lo
	s_and_b32 s38, s38, exec_lo
	s_mov_b32 vcc_lo, -1
	s_or_b32 s20, s20, s38
	s_and_saveexec_b32 s38, s37
	s_cbranch_execz .LBB4_435
; %bb.438:                              ;   in Loop: Header=BB4_436 Depth=4
	s_sleep 1
	s_cbranch_execnz .LBB4_1786
; %bb.439:                              ;   in Loop: Header=BB4_436 Depth=4
	ds_load_b64 v[52:53], v0
	s_and_not1_b32 s20, s20, exec_lo
	s_waitcnt lgkmcnt(0)
	v_cmp_ge_u64_e32 vcc_lo, v[52:53], v[12:13]
	s_or_not1_b32 vcc_lo, vcc_lo, exec_lo
	s_branch .LBB4_435
.LBB4_440:                              ;   in Loop: Header=BB4_436 Depth=4
	s_cbranch_execnz .LBB4_1802
; %bb.441:                              ;   in Loop: Header=BB4_436 Depth=4
	ds_load_b64 v[52:53], v0
	s_and_not1_b32 s37, s37, exec_lo
	s_mov_b32 s28, 0
	s_mov_b32 s38, -1
	s_waitcnt lgkmcnt(0)
	flat_load_b32 v2, v[52:53] glc
	s_waitcnt vmcnt(0) lgkmcnt(0)
	buffer_gl1_inv
	buffer_gl0_inv
	v_cmp_eq_u32_e32 vcc_lo, 0, v2
	s_and_b32 vcc_lo, vcc_lo, exec_lo
	s_delay_alu instid0(SALU_CYCLE_1)
	s_or_b32 s37, s37, vcc_lo
	s_branch .LBB4_437
.LBB4_442:                              ;   in Loop: Header=BB4_310 Depth=3
	s_or_b32 exec_lo, exec_lo, s14
	s_and_saveexec_b32 s14, s15
	s_delay_alu instid0(SALU_CYCLE_1)
	s_xor_b32 s14, exec_lo, s14
	s_cbranch_execz .LBB4_444
; %bb.443:                              ;   in Loop: Header=BB4_310 Depth=3
	ds_store_b32 v0, v128
	s_cbranch_execnz .LBB4_1922
.LBB4_444:                              ;   in Loop: Header=BB4_310 Depth=3
	s_or_b32 exec_lo, exec_lo, s13
	;;#ASMSTART
	s_wakeup
	;;#ASMEND
.LBB4_445:                              ;   in Loop: Header=BB4_310 Depth=3
	s_or_b32 exec_lo, exec_lo, s3
.LBB4_446:                              ;   in Loop: Header=BB4_310 Depth=3
	s_and_not1_saveexec_b32 s2, s2
	s_cbranch_execz .LBB4_448
; %bb.447:                              ;   in Loop: Header=BB4_310 Depth=3
	s_waitcnt lgkmcnt(0)
	s_waitcnt_vscnt null, 0x0
	buffer_gl1_inv
	buffer_gl0_inv
	s_barrier
.LBB4_448:                              ;   in Loop: Header=BB4_310 Depth=3
	s_or_b32 exec_lo, exec_lo, s2
.LBB4_449:                              ;   in Loop: Header=BB4_310 Depth=3
	s_delay_alu instid0(SALU_CYCLE_1) | instskip(SKIP_1) | instid1(SALU_CYCLE_1)
	s_or_b32 exec_lo, exec_lo, s6
                                        ; implicit-def: $vgpr2
	s_and_saveexec_b32 s2, s7
	s_xor_b32 s2, exec_lo, s2
	s_cbranch_execz .LBB4_453
; %bb.450:                              ;   in Loop: Header=BB4_310 Depth=3
	v_and_b32_e32 v2, 16, v30
	v_cmp_lt_i32_e32 vcc_lo, 0, v9
	s_delay_alu instid0(VALU_DEP_2) | instskip(SKIP_1) | instid1(VALU_DEP_2)
	v_cmp_ne_u32_e64 s13, 0, v2
	v_and_b32_e32 v2, 16, v30
	s_and_b32 s6, s13, vcc_lo
	s_delay_alu instid0(SALU_CYCLE_1)
	s_and_saveexec_b32 s3, s6
	s_cbranch_execz .LBB4_452
; %bb.451:                              ;   in Loop: Header=BB4_310 Depth=3
	v_mov_b32_e32 v2, 1
	s_waitcnt lgkmcnt(0)
	s_waitcnt_vscnt null, 0x0
	buffer_gl1_inv
	buffer_gl0_inv
.LBB4_452:                              ;   in Loop: Header=BB4_310 Depth=3
	s_or_b32 exec_lo, exec_lo, s3
.LBB4_453:                              ;   in Loop: Header=BB4_310 Depth=3
	s_and_not1_saveexec_b32 s6, s2
	s_cbranch_execz .LBB4_475
; %bb.454:                              ;   in Loop: Header=BB4_310 Depth=3
	s_and_saveexec_b32 s2, s4
	s_delay_alu instid0(SALU_CYCLE_1)
	s_xor_b32 s2, exec_lo, s2
	s_cbranch_execz .LBB4_472
; %bb.455:                              ;   in Loop: Header=BB4_310 Depth=3
	s_and_saveexec_b32 s3, s1
	s_cbranch_execz .LBB4_471
; %bb.456:                              ;   in Loop: Header=BB4_310 Depth=3
	s_mov_b32 s14, exec_lo
	s_mov_b32 s13, exec_lo
	v_mbcnt_lo_u32_b32 v2, s14, 0
	;;#ASMSTART
	s_waitcnt lgkmcnt(0) vmcnt(0)
	;;#ASMEND
	s_delay_alu instid0(VALU_DEP_1)
	v_cmpx_eq_u32_e32 0, v2
	s_cbranch_execz .LBB4_458
; %bb.457:                              ;   in Loop: Header=BB4_310 Depth=3
	s_bcnt1_i32_b32 s14, s14
	s_delay_alu instid0(SALU_CYCLE_1)
	v_mov_b32_e32 v2, s14
	ds_add_u64 v0, v[2:3]
	s_cbranch_execnz .LBB4_1746
.LBB4_458:                              ;   in Loop: Header=BB4_310 Depth=3
	s_or_b32 exec_lo, exec_lo, s13
	s_cbranch_execnz .LBB4_1716
; %bb.459:                              ;   in Loop: Header=BB4_310 Depth=3
	ds_load_b64 v[52:53], v0
	v_add_co_u32 v12, vcc_lo, v12, v83
	v_add_co_ci_u32_e32 v13, vcc_lo, 0, v13, vcc_lo
	s_mov_b32 s13, exec_lo
	s_waitcnt lgkmcnt(0)
	s_delay_alu instid0(VALU_DEP_1)
	v_cmpx_lt_u64_e64 v[52:53], v[12:13]
	s_cbranch_execz .LBB4_470
; %bb.460:                              ;   in Loop: Header=BB4_310 Depth=3
	s_mov_b32 s14, 0
	s_mov_b32 s28, 0
                                        ; implicit-def: $sgpr15
                                        ; implicit-def: $sgpr20
	s_branch .LBB4_462
.LBB4_461:                              ;   in Loop: Header=BB4_462 Depth=4
	s_or_b32 exec_lo, exec_lo, s38
	s_delay_alu instid0(SALU_CYCLE_1) | instskip(NEXT) | instid1(SALU_CYCLE_1)
	s_and_b32 vcc_lo, exec_lo, vcc_lo
	s_or_b32 s14, vcc_lo, s14
	s_and_not1_b32 s15, s15, exec_lo
	s_and_b32 vcc_lo, s20, exec_lo
	s_delay_alu instid0(SALU_CYCLE_1)
	s_or_b32 s15, s15, vcc_lo
	s_and_not1_b32 exec_lo, exec_lo, s14
	s_cbranch_execz .LBB4_468
.LBB4_462:                              ;   Parent Loop BB4_51 Depth=1
                                        ;     Parent Loop BB4_308 Depth=2
                                        ;       Parent Loop BB4_310 Depth=3
                                        ; =>      This Inner Loop Header: Depth=4
	s_add_i32 s28, s28, 1
                                        ; implicit-def: $sgpr38
	s_delay_alu instid0(SALU_CYCLE_1) | instskip(SKIP_1) | instid1(SALU_CYCLE_1)
	s_cmpk_lg_i32 s28, 0x2710
	s_cselect_b32 s37, -1, 0
	s_and_b32 vcc_lo, exec_lo, s37
	s_cbranch_vccz .LBB4_466
.LBB4_463:                              ;   in Loop: Header=BB4_462 Depth=4
	s_and_not1_b32 s20, s20, exec_lo
	s_and_b32 s38, s38, exec_lo
	s_mov_b32 vcc_lo, -1
	s_or_b32 s20, s20, s38
	s_and_saveexec_b32 s38, s37
	s_cbranch_execz .LBB4_461
; %bb.464:                              ;   in Loop: Header=BB4_462 Depth=4
	s_sleep 1
	s_cbranch_execnz .LBB4_1798
; %bb.465:                              ;   in Loop: Header=BB4_462 Depth=4
	ds_load_b64 v[52:53], v0
	s_and_not1_b32 s20, s20, exec_lo
	s_waitcnt lgkmcnt(0)
	v_cmp_ge_u64_e32 vcc_lo, v[52:53], v[12:13]
	s_or_not1_b32 vcc_lo, vcc_lo, exec_lo
	s_branch .LBB4_461
.LBB4_466:                              ;   in Loop: Header=BB4_462 Depth=4
	s_cbranch_execnz .LBB4_1816
; %bb.467:                              ;   in Loop: Header=BB4_462 Depth=4
	ds_load_b64 v[52:53], v0
	s_and_not1_b32 s37, s37, exec_lo
	s_mov_b32 s28, 0
	s_mov_b32 s38, -1
	s_waitcnt lgkmcnt(0)
	s_waitcnt_vscnt null, 0x0
	flat_load_b32 v2, v[52:53] glc
	s_waitcnt vmcnt(0) lgkmcnt(0)
	buffer_gl1_inv
	buffer_gl0_inv
	v_cmp_eq_u32_e32 vcc_lo, 0, v2
	s_and_b32 vcc_lo, vcc_lo, exec_lo
	s_delay_alu instid0(SALU_CYCLE_1)
	s_or_b32 s37, s37, vcc_lo
	s_branch .LBB4_463
.LBB4_468:                              ;   in Loop: Header=BB4_310 Depth=3
	s_or_b32 exec_lo, exec_lo, s14
	s_and_saveexec_b32 s14, s15
	s_delay_alu instid0(SALU_CYCLE_1)
	s_xor_b32 s14, exec_lo, s14
	s_cbranch_execz .LBB4_470
; %bb.469:                              ;   in Loop: Header=BB4_310 Depth=3
	ds_store_b32 v0, v128
	s_cbranch_execnz .LBB4_1930
.LBB4_470:                              ;   in Loop: Header=BB4_310 Depth=3
	s_or_b32 exec_lo, exec_lo, s13
	;;#ASMSTART
	s_wakeup
	;;#ASMEND
.LBB4_471:                              ;   in Loop: Header=BB4_310 Depth=3
	s_or_b32 exec_lo, exec_lo, s3
.LBB4_472:                              ;   in Loop: Header=BB4_310 Depth=3
	s_and_not1_saveexec_b32 s2, s2
	s_cbranch_execz .LBB4_474
; %bb.473:                              ;   in Loop: Header=BB4_310 Depth=3
	;;#ASMSTART
	s_waitcnt lgkmcnt(0) vmcnt(0)
	;;#ASMEND
	s_waitcnt lgkmcnt(0)
	s_waitcnt_vscnt null, 0x0
	s_barrier
.LBB4_474:                              ;   in Loop: Header=BB4_310 Depth=3
	s_or_b32 exec_lo, exec_lo, s2
	v_and_b32_e32 v2, 16, v30
.LBB4_475:                              ;   in Loop: Header=BB4_310 Depth=3
	s_or_b32 exec_lo, exec_lo, s6
	s_delay_alu instid0(VALU_DEP_1) | instskip(SKIP_1) | instid1(SALU_CYCLE_1)
	v_cmp_ne_u32_e32 vcc_lo, 0, v2
	s_xor_b32 s2, s10, -1
	s_and_b32 s3, vcc_lo, s2
	s_delay_alu instid0(SALU_CYCLE_1)
	s_and_saveexec_b32 s2, s3
	s_cbranch_execz .LBB4_477
; %bb.476:                              ;   in Loop: Header=BB4_310 Depth=3
	s_waitcnt lgkmcnt(0)
	s_waitcnt_vscnt null, 0x0
	flat_store_b32 v[26:27], v128
.LBB4_477:                              ;   in Loop: Header=BB4_310 Depth=3
	s_or_b32 exec_lo, exec_lo, s2
	v_and_b32_e32 v2, 48, v30
	s_mov_b32 s2, exec_lo
	s_delay_alu instid0(VALU_DEP_1)
	v_cmpx_ne_u32_e32 0, v2
	s_cbranch_execz .LBB4_479
; %bb.478:                              ;   in Loop: Header=BB4_310 Depth=3
	v_add_co_u32 v22, vcc_lo, v22, 2
	v_add_co_ci_u32_e32 v23, vcc_lo, 0, v23, vcc_lo
	s_waitcnt lgkmcnt(0)
	s_waitcnt_vscnt null, 0x0
	flat_store_b64 v[20:21], v[22:23]
.LBB4_479:                              ;   in Loop: Header=BB4_310 Depth=3
	s_or_b32 exec_lo, exec_lo, s2
	v_add_nc_u32_e32 v10, v8, v10
	v_readlane_b32 s2, v42, 16
	s_mov_b32 s14, s5
	s_mov_b32 s6, 2
	;; [unrolled: 1-line block ×3, first 2 shown]
	v_cmp_ge_i32_e32 vcc_lo, v10, v66
	s_xor_b32 s2, s2, -1
	s_mov_b32 s13, s12
	s_or_b32 s2, s2, vcc_lo
	s_delay_alu instid0(SALU_CYCLE_1) | instskip(SKIP_2) | instid1(VALU_DEP_1)
	s_and_b32 s3, exec_lo, s2
	v_readlane_b32 s2, v42, 15
	s_or_b32 s30, s3, s30
	v_mov_b32_e32 v2, s2
	s_mov_b32 s2, vcc_hi
	s_and_not1_b32 exec_lo, exec_lo, s30
	s_cbranch_execnz .LBB4_310
; %bb.480:                              ;   in Loop: Header=BB4_308 Depth=2
	s_or_b32 exec_lo, exec_lo, s30
.LBB4_481:                              ;   in Loop: Header=BB4_308 Depth=2
	s_delay_alu instid0(SALU_CYCLE_1) | instskip(NEXT) | instid1(SALU_CYCLE_1)
	s_or_b32 exec_lo, exec_lo, s17
	s_mov_b32 s5, exec_lo
	v_cmpx_gt_i32_e32 2, v2
	s_cbranch_execz .LBB4_565
; %bb.482:                              ;   in Loop: Header=BB4_308 Depth=2
	v_cmp_eq_u32_e64 s6, 0, v2
	s_mov_b32 s12, 0
.LBB4_483:                              ;   Parent Loop BB4_51 Depth=1
                                        ;     Parent Loop BB4_308 Depth=2
                                        ; =>    This Loop Header: Depth=3
                                        ;         Child Loop BB4_489 Depth 4
                                        ;         Child Loop BB4_519 Depth 4
                                        ;         Child Loop BB4_541 Depth 4
	v_and_b32_e32 v2, 12, v30
	s_mov_b32 s28, -1
	s_mov_b32 s3, exec_lo
	s_delay_alu instid0(VALU_DEP_1)
	v_cmpx_ne_u32_e32 0, v2
	s_cbranch_execz .LBB4_497
; %bb.484:                              ;   in Loop: Header=BB4_483 Depth=3
	v_dual_mov_b32 v9, 1 :: v_dual_and_b32 v2, 8, v30
	s_mov_b32 s15, s29
	s_mov_b32 s17, s34
	;; [unrolled: 1-line block ×3, first 2 shown]
	s_delay_alu instid0(VALU_DEP_1) | instskip(SKIP_4) | instid1(VALU_DEP_1)
	v_add_co_u32 v52, vcc_lo, v28, v2
	v_add_co_ci_u32_e32 v53, vcc_lo, 0, v29, vcc_lo
	v_add_co_u32 v50, vcc_lo, v22, 2
	v_add_co_ci_u32_e32 v51, vcc_lo, 0, v23, vcc_lo
	s_mov_b32 s28, exec_lo
	v_cmpx_lt_u64_e64 v[52:53], v[50:51]
	s_cbranch_execz .LBB4_496
; %bb.485:                              ;   in Loop: Header=BB4_483 Depth=3
	v_mov_b32_e32 v9, 0
	s_mov_b32 s29, 0
                                        ; implicit-def: $vcc_hi
	s_branch .LBB4_489
.LBB4_486:                              ;   in Loop: Header=BB4_489 Depth=4
	s_or_b32 exec_lo, exec_lo, s37
	v_mov_b32_e32 v11, 0
	s_or_not1_b32 s34, s34, exec_lo
.LBB4_487:                              ;   in Loop: Header=BB4_489 Depth=4
	s_or_b32 exec_lo, exec_lo, s31
	s_delay_alu instid0(VALU_DEP_1) | instskip(SKIP_2) | instid1(SALU_CYCLE_1)
	v_mov_b32_e32 v9, v11
	s_and_not1_b32 vcc_lo, vcc_hi, exec_lo
	s_and_b32 vcc_hi, s34, exec_lo
	s_or_b32 vcc_hi, vcc_lo, vcc_hi
.LBB4_488:                              ;   in Loop: Header=BB4_489 Depth=4
	s_or_b32 exec_lo, exec_lo, s30
	s_waitcnt vmcnt(0) lgkmcnt(0)
	v_add_co_u32 v52, vcc_lo, v28, v2
	v_add_co_ci_u32_e32 v53, vcc_lo, 0, v29, vcc_lo
	s_delay_alu instid0(VALU_DEP_1) | instskip(SKIP_1) | instid1(SALU_CYCLE_1)
	v_cmp_ge_u64_e32 vcc_lo, v[52:53], v[50:51]
	s_xor_b32 s30, vcc_hi, -1
	s_or_b32 vcc_lo, s30, vcc_lo
	s_delay_alu instid0(SALU_CYCLE_1) | instskip(NEXT) | instid1(SALU_CYCLE_1)
	s_and_b32 vcc_lo, exec_lo, vcc_lo
	s_or_b32 s29, vcc_lo, s29
	s_delay_alu instid0(SALU_CYCLE_1)
	s_and_not1_b32 exec_lo, exec_lo, s29
	s_cbranch_execz .LBB4_495
.LBB4_489:                              ;   Parent Loop BB4_51 Depth=1
                                        ;     Parent Loop BB4_308 Depth=2
                                        ;       Parent Loop BB4_483 Depth=3
                                        ; =>      This Inner Loop Header: Depth=4
	s_sleep 1
	flat_load_b64 v[28:29], v[20:21] glc
	v_and_b32_e32 v11, 64, v30
	s_and_not1_b32 vcc_hi, vcc_hi, exec_lo
	s_mov_b32 s30, exec_lo
	s_delay_alu instid0(VALU_DEP_1)
	v_cmpx_eq_u32_e32 0, v11
	s_cbranch_execz .LBB4_488
; %bb.490:                              ;   in Loop: Header=BB4_489 Depth=4
	v_add_nc_u32_e32 v11, 1, v9
	s_mov_b32 s34, -1
	s_mov_b32 s31, exec_lo
	v_cmpx_lt_i32_e32 0x270e, v9
	s_cbranch_execz .LBB4_487
; %bb.491:                              ;   in Loop: Header=BB4_489 Depth=4
	s_cbranch_execnz .LBB4_1520
; %bb.492:                              ;   in Loop: Header=BB4_489 Depth=4
	ds_load_b64 v[52:53], v0
	s_mov_b32 s37, exec_lo
	s_waitcnt vmcnt(0) lgkmcnt(0)
	s_waitcnt_vscnt null, 0x0
	flat_load_b32 v9, v[52:53] glc
	s_waitcnt vmcnt(0) lgkmcnt(0)
	buffer_gl1_inv
	buffer_gl0_inv
	v_cmpx_ne_u32_e32 0, v9
	s_cbranch_execz .LBB4_486
; %bb.493:                              ;   in Loop: Header=BB4_489 Depth=4
	ds_store_b32 v0, v9
	s_cbranch_execnz .LBB4_1568
; %bb.494:                              ;   in Loop: Header=BB4_489 Depth=4
	v_or_b32_e32 v30, 64, v30
	s_xor_b32 s34, exec_lo, -1
	s_branch .LBB4_486
.LBB4_495:                              ;   in Loop: Header=BB4_483 Depth=3
	s_or_b32 exec_lo, exec_lo, s29
	v_and_b32_e32 v9, 12, v30
.LBB4_496:                              ;   in Loop: Header=BB4_483 Depth=3
	s_or_b32 exec_lo, exec_lo, s28
	s_delay_alu instid0(VALU_DEP_1)
	v_cmp_eq_u32_e32 vcc_lo, 0, v9
	s_mov_b32 s31, s20
	s_mov_b32 s34, s17
	;; [unrolled: 1-line block ×3, first 2 shown]
	;;#ASMSTART
	s_wakeup
	;;#ASMEND
	s_or_not1_b32 s28, vcc_lo, exec_lo
.LBB4_497:                              ;   in Loop: Header=BB4_483 Depth=3
	s_or_b32 exec_lo, exec_lo, s3
	v_sub_nc_u32_e32 v2, v66, v10
	s_xor_b32 s3, s6, -1
	s_delay_alu instid0(SALU_CYCLE_1) | instskip(NEXT) | instid1(SALU_CYCLE_1)
	s_and_b32 s3, exec_lo, s3
	s_or_b32 s12, s3, s12
	s_delay_alu instid0(VALU_DEP_1) | instskip(SKIP_1) | instid1(SALU_CYCLE_1)
	v_min_i32_e32 v8, v8, v2
	s_xor_b32 s6, s28, -1
	s_and_saveexec_b32 s3, s6
	s_cbranch_execz .LBB4_510
; %bb.498:                              ;   in Loop: Header=BB4_483 Depth=3
	v_and_b32_e32 v2, 0x108, v30
	s_mov_b32 s15, s7
	s_mov_b32 s17, s4
	;; [unrolled: 1-line block ×4, first 2 shown]
	v_cmp_ne_u32_e32 vcc_lo, 0x108, v2
	v_and_b32_e32 v2, 7, v22
	s_mov_b32 s2, s13
	s_and_saveexec_b32 s13, vcc_lo
	s_delay_alu instid0(SALU_CYCLE_1) | instskip(NEXT) | instid1(SALU_CYCLE_1)
	s_xor_b32 s13, exec_lo, s13
	s_and_not1_saveexec_b32 s13, s13
	s_cbranch_execz .LBB4_500
; %bb.499:                              ;   in Loop: Header=BB4_483 Depth=3
	v_ashrrev_i32_e32 v9, 31, v8
	v_mad_u64_u32 v[50:51], null, v2, 24, v[6:7]
	s_delay_alu instid0(VALU_DEP_2)
	v_lshlrev_b64 v[52:53], 3, v[8:9]
	flat_store_b64 v[50:51], v[52:53] offset:8
.LBB4_500:                              ;   in Loop: Header=BB4_483 Depth=3
	s_or_b32 exec_lo, exec_lo, s13
	v_and_b32_e32 v9, 0x100, v30
	s_mov_b32 s13, -1
	s_mov_b32 s28, exec_lo
                                        ; implicit-def: $vgpr50_vgpr51
	s_delay_alu instid0(VALU_DEP_1)
	v_cmpx_ne_u32_e32 0, v9
	s_cbranch_execnz .LBB4_503
; %bb.501:                              ;   in Loop: Header=BB4_483 Depth=3
	s_or_b32 exec_lo, exec_lo, s28
	s_and_saveexec_b32 s28, s13
	s_cbranch_execnz .LBB4_506
.LBB4_502:                              ;   in Loop: Header=BB4_483 Depth=3
	s_or_b32 exec_lo, exec_lo, s28
	s_cbranch_execnz .LBB4_1512
	s_branch .LBB4_507
.LBB4_503:                              ;   in Loop: Header=BB4_483 Depth=3
	v_mad_u64_u32 v[52:53], null, v2, 24, v[6:7]
	s_mov_b32 s29, exec_lo
	s_delay_alu instid0(VALU_DEP_1) | instskip(NEXT) | instid1(VALU_DEP_1)
	v_mov_b32_e32 v9, v53
	v_mad_u64_u32 v[50:51], null, v3, 24, v[9:10]
	s_delay_alu instid0(VALU_DEP_1)
	v_mov_b32_e32 v53, v50
                                        ; implicit-def: $vgpr50_vgpr51
	flat_load_b32 v9, v[52:53]
	s_waitcnt vmcnt(0) lgkmcnt(0)
	v_cmp_ne_u32_e32 vcc_lo, 1, v9
	v_cmpx_eq_u32_e32 1, v9
	s_cbranch_execz .LBB4_505
; %bb.504:                              ;   in Loop: Header=BB4_483 Depth=3
	flat_load_b32 v50, v[52:53] offset:4 glc
	s_waitcnt vmcnt(0) lgkmcnt(0)
	v_ashrrev_i32_e32 v51, 31, v50
	s_delay_alu instid0(VALU_DEP_1)
	v_lshrrev_b64 v[50:51], 3, v[50:51]
.LBB4_505:                              ;   in Loop: Header=BB4_483 Depth=3
	s_or_b32 exec_lo, exec_lo, s29
	s_delay_alu instid0(SALU_CYCLE_1)
	s_or_not1_b32 s13, vcc_lo, exec_lo
	s_or_b32 exec_lo, exec_lo, s28
	s_and_saveexec_b32 s28, s13
	s_cbranch_execz .LBB4_502
.LBB4_506:                              ;   in Loop: Header=BB4_483 Depth=3
	v_mul_lo_u32 v9, v3, v81
	v_mul_lo_u32 v11, v2, v82
	v_mad_u64_u32 v[50:51], null, v2, v81, 0
	s_delay_alu instid0(VALU_DEP_1)
	v_add3_u32 v51, v51, v11, v9
	s_or_b32 exec_lo, exec_lo, s28
	s_cbranch_execnz .LBB4_1512
.LBB4_507:                              ;   in Loop: Header=BB4_483 Depth=3
	s_delay_alu instid0(VALU_DEP_1) | instskip(SKIP_2) | instid1(VALU_DEP_2)
	v_lshlrev_b64 v[50:51], 3, v[50:51]
	v_and_b32_e32 v2, 0x2000, v30
	s_mov_b32 s13, exec_lo
	v_add_co_u32 v50, vcc_lo, v24, v50
	s_delay_alu instid0(VALU_DEP_3)
	v_add_co_ci_u32_e32 v51, vcc_lo, v25, v51, vcc_lo
	ds_store_b64 v0, v[50:51]
	v_cmpx_ne_u32_e32 0, v2
	s_cbranch_execz .LBB4_509
; %bb.508:                              ;   in Loop: Header=BB4_483 Depth=3
	ds_load_b64 v[50:51], v0 offset:584
	s_waitcnt lgkmcnt(0)
	v_add_co_u32 v50, vcc_lo, v50, 1
	v_add_co_ci_u32_e32 v51, vcc_lo, 0, v51, vcc_lo
	ds_store_b64 v0, v[50:51] offset:584
.LBB4_509:                              ;   in Loop: Header=BB4_483 Depth=3
	s_or_b32 exec_lo, exec_lo, s13
	v_add_co_u32 v22, vcc_lo, v22, 2
	v_add_co_ci_u32_e32 v23, vcc_lo, 0, v23, vcc_lo
	s_mov_b32 s13, s2
	s_mov_b32 s2, s7
	;; [unrolled: 1-line block ×5, first 2 shown]
.LBB4_510:                              ;   in Loop: Header=BB4_483 Depth=3
	s_or_b32 exec_lo, exec_lo, s3
	s_mov_b32 s17, s13
	s_mov_b32 s15, s34
	;; [unrolled: 1-line block ×4, first 2 shown]
	s_and_saveexec_b32 s6, s36
	s_cbranch_execz .LBB4_532
; %bb.511:                              ;   in Loop: Header=BB4_483 Depth=3
	s_and_saveexec_b32 s13, s4
	s_delay_alu instid0(SALU_CYCLE_1)
	s_xor_b32 s13, exec_lo, s13
	s_cbranch_execz .LBB4_529
; %bb.512:                              ;   in Loop: Header=BB4_483 Depth=3
	s_and_saveexec_b32 s20, s1
	s_cbranch_execz .LBB4_528
; %bb.513:                              ;   in Loop: Header=BB4_483 Depth=3
	s_mov_b32 vcc_hi, exec_lo
	s_mov_b32 s28, exec_lo
	v_mbcnt_lo_u32_b32 v2, vcc_hi, 0
	s_waitcnt lgkmcnt(0)
	s_waitcnt_vscnt null, 0x0
	buffer_gl1_inv
	buffer_gl0_inv
	v_cmpx_eq_u32_e32 0, v2
	s_cbranch_execz .LBB4_515
; %bb.514:                              ;   in Loop: Header=BB4_483 Depth=3
	s_bcnt1_i32_b32 vcc_lo, vcc_hi
	s_delay_alu instid0(SALU_CYCLE_1)
	v_mov_b32_e32 v2, vcc_lo
	ds_add_u64 v0, v[2:3]
	s_cbranch_execnz .LBB4_1624
.LBB4_515:                              ;   in Loop: Header=BB4_483 Depth=3
	s_or_b32 exec_lo, exec_lo, s28
	s_cbranch_execnz .LBB4_1590
; %bb.516:                              ;   in Loop: Header=BB4_483 Depth=3
	ds_load_b64 v[50:51], v0
	v_add_co_u32 v12, vcc_lo, v12, v83
	v_add_co_ci_u32_e32 v13, vcc_lo, 0, v13, vcc_lo
	s_mov_b32 s28, exec_lo
	s_waitcnt lgkmcnt(0)
	s_delay_alu instid0(VALU_DEP_1)
	v_cmpx_lt_u64_e64 v[50:51], v[12:13]
	s_cbranch_execz .LBB4_527
; %bb.517:                              ;   in Loop: Header=BB4_483 Depth=3
	s_mov_b32 vcc_hi, 0
	s_mov_b32 s36, 0
                                        ; implicit-def: $sgpr31
                                        ; implicit-def: $sgpr34
	s_branch .LBB4_519
.LBB4_518:                              ;   in Loop: Header=BB4_519 Depth=4
	s_or_b32 exec_lo, exec_lo, s38
	s_delay_alu instid0(SALU_CYCLE_1) | instskip(NEXT) | instid1(SALU_CYCLE_1)
	s_and_b32 vcc_lo, exec_lo, vcc_lo
	s_or_b32 vcc_hi, vcc_lo, vcc_hi
	s_and_not1_b32 vcc_lo, s31, exec_lo
	s_and_b32 s31, s34, exec_lo
	s_delay_alu instid0(SALU_CYCLE_1)
	s_or_b32 s31, vcc_lo, s31
	s_and_not1_b32 exec_lo, exec_lo, vcc_hi
	s_cbranch_execz .LBB4_525
.LBB4_519:                              ;   Parent Loop BB4_51 Depth=1
                                        ;     Parent Loop BB4_308 Depth=2
                                        ;       Parent Loop BB4_483 Depth=3
                                        ; =>      This Inner Loop Header: Depth=4
	s_add_i32 s36, s36, 1
                                        ; implicit-def: $sgpr38
	s_delay_alu instid0(SALU_CYCLE_1) | instskip(SKIP_1) | instid1(SALU_CYCLE_1)
	s_cmpk_lg_i32 s36, 0x2710
	s_cselect_b32 s37, -1, 0
	s_and_b32 vcc_lo, exec_lo, s37
	s_cbranch_vccz .LBB4_523
.LBB4_520:                              ;   in Loop: Header=BB4_519 Depth=4
	s_and_not1_b32 s34, s34, exec_lo
	s_and_b32 s38, s38, exec_lo
	s_mov_b32 vcc_lo, -1
	s_or_b32 s34, s34, s38
	s_and_saveexec_b32 s38, s37
	s_cbranch_execz .LBB4_518
; %bb.521:                              ;   in Loop: Header=BB4_519 Depth=4
	s_sleep 1
	s_cbranch_execnz .LBB4_1672
; %bb.522:                              ;   in Loop: Header=BB4_519 Depth=4
	ds_load_b64 v[50:51], v0
	s_and_not1_b32 s34, s34, exec_lo
	s_waitcnt lgkmcnt(0)
	v_cmp_ge_u64_e32 vcc_lo, v[50:51], v[12:13]
	s_or_not1_b32 vcc_lo, vcc_lo, exec_lo
	s_branch .LBB4_518
.LBB4_523:                              ;   in Loop: Header=BB4_519 Depth=4
	s_cbranch_execnz .LBB4_1680
; %bb.524:                              ;   in Loop: Header=BB4_519 Depth=4
	ds_load_b64 v[50:51], v0
	s_and_not1_b32 s37, s37, exec_lo
	s_mov_b32 s36, 0
	s_mov_b32 s38, -1
	s_waitcnt lgkmcnt(0)
	flat_load_b32 v2, v[50:51] glc
	s_waitcnt vmcnt(0) lgkmcnt(0)
	buffer_gl1_inv
	buffer_gl0_inv
	v_cmp_eq_u32_e32 vcc_lo, 0, v2
	s_and_b32 vcc_lo, vcc_lo, exec_lo
	s_delay_alu instid0(SALU_CYCLE_1)
	s_or_b32 s37, s37, vcc_lo
	s_branch .LBB4_520
.LBB4_525:                              ;   in Loop: Header=BB4_483 Depth=3
	s_or_b32 exec_lo, exec_lo, vcc_hi
	s_and_saveexec_b32 vcc_lo, s31
	s_delay_alu instid0(SALU_CYCLE_1)
	s_xor_b32 vcc_lo, exec_lo, vcc_lo
	s_cbranch_execz .LBB4_527
; %bb.526:                              ;   in Loop: Header=BB4_483 Depth=3
	ds_store_b32 v0, v128
	s_cbranch_execnz .LBB4_1882
.LBB4_527:                              ;   in Loop: Header=BB4_483 Depth=3
	s_or_b32 exec_lo, exec_lo, s28
	;;#ASMSTART
	s_wakeup
	;;#ASMEND
.LBB4_528:                              ;   in Loop: Header=BB4_483 Depth=3
	s_or_b32 exec_lo, exec_lo, s20
.LBB4_529:                              ;   in Loop: Header=BB4_483 Depth=3
	s_and_not1_saveexec_b32 s13, s13
	s_cbranch_execz .LBB4_531
; %bb.530:                              ;   in Loop: Header=BB4_483 Depth=3
	s_waitcnt lgkmcnt(0)
	s_waitcnt_vscnt null, 0x0
	buffer_gl1_inv
	buffer_gl0_inv
	s_barrier
.LBB4_531:                              ;   in Loop: Header=BB4_483 Depth=3
	s_or_b32 exec_lo, exec_lo, s13
.LBB4_532:                              ;   in Loop: Header=BB4_483 Depth=3
	s_delay_alu instid0(SALU_CYCLE_1) | instskip(SKIP_1) | instid1(VALU_DEP_1)
	s_or_b32 exec_lo, exec_lo, s6
	v_readlane_b32 s6, v42, 2
                                        ; implicit-def: $vgpr2
	s_and_saveexec_b32 s13, s6
	s_delay_alu instid0(SALU_CYCLE_1)
	s_xor_b32 s6, exec_lo, s13
	s_cbranch_execz .LBB4_554
; %bb.533:                              ;   in Loop: Header=BB4_483 Depth=3
	s_and_saveexec_b32 s13, s4
	s_delay_alu instid0(SALU_CYCLE_1)
	s_xor_b32 s13, exec_lo, s13
	s_cbranch_execz .LBB4_551
; %bb.534:                              ;   in Loop: Header=BB4_483 Depth=3
	s_and_saveexec_b32 s20, s1
	s_cbranch_execz .LBB4_550
; %bb.535:                              ;   in Loop: Header=BB4_483 Depth=3
	s_mov_b32 vcc_hi, exec_lo
	s_mov_b32 s28, exec_lo
	v_mbcnt_lo_u32_b32 v2, vcc_hi, 0
	;;#ASMSTART
	s_waitcnt lgkmcnt(0) vmcnt(0)
	;;#ASMEND
	s_delay_alu instid0(VALU_DEP_1)
	v_cmpx_eq_u32_e32 0, v2
	s_cbranch_execz .LBB4_537
; %bb.536:                              ;   in Loop: Header=BB4_483 Depth=3
	s_bcnt1_i32_b32 vcc_lo, vcc_hi
	s_delay_alu instid0(SALU_CYCLE_1)
	v_mov_b32_e32 v2, vcc_lo
	ds_add_u64 v0, v[2:3]
	s_cbranch_execnz .LBB4_1634
.LBB4_537:                              ;   in Loop: Header=BB4_483 Depth=3
	s_or_b32 exec_lo, exec_lo, s28
	s_cbranch_execnz .LBB4_1600
; %bb.538:                              ;   in Loop: Header=BB4_483 Depth=3
	ds_load_b64 v[50:51], v0
	v_add_co_u32 v12, vcc_lo, v12, v83
	v_add_co_ci_u32_e32 v13, vcc_lo, 0, v13, vcc_lo
	s_mov_b32 s28, exec_lo
	s_waitcnt lgkmcnt(0)
	s_delay_alu instid0(VALU_DEP_1)
	v_cmpx_lt_u64_e64 v[50:51], v[12:13]
	s_cbranch_execz .LBB4_549
; %bb.539:                              ;   in Loop: Header=BB4_483 Depth=3
	s_mov_b32 vcc_hi, 0
	s_mov_b32 s36, 0
                                        ; implicit-def: $sgpr31
                                        ; implicit-def: $sgpr34
	s_branch .LBB4_541
.LBB4_540:                              ;   in Loop: Header=BB4_541 Depth=4
	s_or_b32 exec_lo, exec_lo, s38
	s_delay_alu instid0(SALU_CYCLE_1) | instskip(NEXT) | instid1(SALU_CYCLE_1)
	s_and_b32 vcc_lo, exec_lo, vcc_lo
	s_or_b32 vcc_hi, vcc_lo, vcc_hi
	s_and_not1_b32 vcc_lo, s31, exec_lo
	s_and_b32 s31, s34, exec_lo
	s_delay_alu instid0(SALU_CYCLE_1)
	s_or_b32 s31, vcc_lo, s31
	s_and_not1_b32 exec_lo, exec_lo, vcc_hi
	s_cbranch_execz .LBB4_547
.LBB4_541:                              ;   Parent Loop BB4_51 Depth=1
                                        ;     Parent Loop BB4_308 Depth=2
                                        ;       Parent Loop BB4_483 Depth=3
                                        ; =>      This Inner Loop Header: Depth=4
	s_add_i32 s36, s36, 1
                                        ; implicit-def: $sgpr38
	s_delay_alu instid0(SALU_CYCLE_1) | instskip(SKIP_1) | instid1(SALU_CYCLE_1)
	s_cmpk_lg_i32 s36, 0x2710
	s_cselect_b32 s37, -1, 0
	s_and_b32 vcc_lo, exec_lo, s37
	s_cbranch_vccz .LBB4_545
.LBB4_542:                              ;   in Loop: Header=BB4_541 Depth=4
	s_and_not1_b32 s34, s34, exec_lo
	s_and_b32 s38, s38, exec_lo
	s_mov_b32 vcc_lo, -1
	s_or_b32 s34, s34, s38
	s_and_saveexec_b32 s38, s37
	s_cbranch_execz .LBB4_540
; %bb.543:                              ;   in Loop: Header=BB4_541 Depth=4
	s_sleep 1
	s_cbranch_execnz .LBB4_1674
; %bb.544:                              ;   in Loop: Header=BB4_541 Depth=4
	ds_load_b64 v[50:51], v0
	s_and_not1_b32 s34, s34, exec_lo
	s_waitcnt lgkmcnt(0)
	v_cmp_ge_u64_e32 vcc_lo, v[50:51], v[12:13]
	s_or_not1_b32 vcc_lo, vcc_lo, exec_lo
	s_branch .LBB4_540
.LBB4_545:                              ;   in Loop: Header=BB4_541 Depth=4
	s_cbranch_execnz .LBB4_1690
; %bb.546:                              ;   in Loop: Header=BB4_541 Depth=4
	ds_load_b64 v[50:51], v0
	s_and_not1_b32 s37, s37, exec_lo
	s_mov_b32 s36, 0
	s_mov_b32 s38, -1
	s_waitcnt lgkmcnt(0)
	s_waitcnt_vscnt null, 0x0
	flat_load_b32 v2, v[50:51] glc
	s_waitcnt vmcnt(0) lgkmcnt(0)
	buffer_gl1_inv
	buffer_gl0_inv
	v_cmp_eq_u32_e32 vcc_lo, 0, v2
	s_and_b32 vcc_lo, vcc_lo, exec_lo
	s_delay_alu instid0(SALU_CYCLE_1)
	s_or_b32 s37, s37, vcc_lo
	s_branch .LBB4_542
.LBB4_547:                              ;   in Loop: Header=BB4_483 Depth=3
	s_or_b32 exec_lo, exec_lo, vcc_hi
	s_and_saveexec_b32 vcc_lo, s31
	s_delay_alu instid0(SALU_CYCLE_1)
	s_xor_b32 vcc_lo, exec_lo, vcc_lo
	s_cbranch_execz .LBB4_549
; %bb.548:                              ;   in Loop: Header=BB4_483 Depth=3
	ds_store_b32 v0, v128
	s_cbranch_execnz .LBB4_1886
.LBB4_549:                              ;   in Loop: Header=BB4_483 Depth=3
	s_or_b32 exec_lo, exec_lo, s28
	;;#ASMSTART
	s_wakeup
	;;#ASMEND
.LBB4_550:                              ;   in Loop: Header=BB4_483 Depth=3
	s_or_b32 exec_lo, exec_lo, s20
.LBB4_551:                              ;   in Loop: Header=BB4_483 Depth=3
	s_and_not1_saveexec_b32 s13, s13
	s_cbranch_execz .LBB4_553
; %bb.552:                              ;   in Loop: Header=BB4_483 Depth=3
	;;#ASMSTART
	s_waitcnt lgkmcnt(0) vmcnt(0)
	;;#ASMEND
	s_waitcnt lgkmcnt(0)
	s_waitcnt_vscnt null, 0x0
	s_barrier
.LBB4_553:                              ;   in Loop: Header=BB4_483 Depth=3
	s_or_b32 exec_lo, exec_lo, s13
	v_and_b32_e32 v2, 16, v30
.LBB4_554:                              ;   in Loop: Header=BB4_483 Depth=3
	s_and_not1_saveexec_b32 s6, s6
	s_cbranch_execz .LBB4_559
; %bb.555:                              ;   in Loop: Header=BB4_483 Depth=3
	s_cbranch_execnz .LBB4_1534
; %bb.556:                              ;   in Loop: Header=BB4_483 Depth=3
	ds_load_b32 v2, v0
	v_cmp_lt_i32_e32 vcc_lo, 0, v8
	s_waitcnt lgkmcnt(0)
	v_readfirstlane_b32 s13, v2
	v_and_b32_e32 v2, 16, v30
	s_delay_alu instid0(VALU_DEP_2) | instskip(NEXT) | instid1(VALU_DEP_1)
	s_cmp_eq_u32 s13, 0
	v_cmp_ne_u32_e64 s13, 0, v2
	s_cselect_b32 s20, -1, 0
	v_and_b32_e32 v2, 16, v30
	s_and_b32 s20, vcc_lo, s20
	s_delay_alu instid0(VALU_DEP_2) | instid1(SALU_CYCLE_1)
	s_and_b32 s20, s13, s20
	s_delay_alu instid0(SALU_CYCLE_1)
	s_and_saveexec_b32 s13, s20
	s_cbranch_execz .LBB4_558
; %bb.557:                              ;   in Loop: Header=BB4_483 Depth=3
	v_mov_b32_e32 v2, 1
	s_waitcnt_vscnt null, 0x0
	buffer_gl1_inv
	buffer_gl0_inv
.LBB4_558:                              ;   in Loop: Header=BB4_483 Depth=3
	s_or_b32 exec_lo, exec_lo, s13
.LBB4_559:                              ;   in Loop: Header=BB4_483 Depth=3
	s_delay_alu instid0(SALU_CYCLE_1) | instskip(NEXT) | instid1(VALU_DEP_1)
	s_or_b32 exec_lo, exec_lo, s6
	v_cmp_ne_u32_e32 vcc_lo, 0, v2
	s_xor_b32 s6, s10, -1
	s_delay_alu instid0(SALU_CYCLE_1) | instskip(NEXT) | instid1(SALU_CYCLE_1)
	s_and_b32 s13, vcc_lo, s6
	s_and_saveexec_b32 s6, s13
	s_cbranch_execz .LBB4_561
; %bb.560:                              ;   in Loop: Header=BB4_483 Depth=3
	s_waitcnt lgkmcnt(0)
	s_waitcnt_vscnt null, 0x0
	flat_store_b32 v[26:27], v128
.LBB4_561:                              ;   in Loop: Header=BB4_483 Depth=3
	s_or_b32 exec_lo, exec_lo, s6
	v_and_b32_e32 v2, 48, v30
	s_mov_b32 s6, exec_lo
	s_delay_alu instid0(VALU_DEP_1)
	v_cmpx_ne_u32_e32 0, v2
	s_cbranch_execz .LBB4_563
; %bb.562:                              ;   in Loop: Header=BB4_483 Depth=3
	v_add_co_u32 v22, vcc_lo, v22, 2
	v_add_co_ci_u32_e32 v23, vcc_lo, 0, v23, vcc_lo
	s_waitcnt lgkmcnt(0)
	s_waitcnt_vscnt null, 0x0
	flat_store_b64 v[20:21], v[22:23]
.LBB4_563:                              ;   in Loop: Header=BB4_483 Depth=3
	s_or_b32 exec_lo, exec_lo, s6
	v_add_nc_u32_e32 v10, v8, v10
	s_mov_b32 s6, 0
	s_mov_b32 s31, s30
	;; [unrolled: 1-line block ×5, first 2 shown]
	s_and_not1_b32 exec_lo, exec_lo, s12
	s_cbranch_execnz .LBB4_483
; %bb.564:                              ;   in Loop: Header=BB4_308 Depth=2
	s_or_b32 exec_lo, exec_lo, s12
.LBB4_565:                              ;   in Loop: Header=BB4_308 Depth=2
	s_delay_alu instid0(SALU_CYCLE_1) | instskip(SKIP_1) | instid1(SALU_CYCLE_1)
	s_or_b32 exec_lo, exec_lo, s5
	s_add_i32 s16, s16, 1
	s_cmp_eq_u32 s16, s19
	s_cbranch_scc0 .LBB4_308
; %bb.566:                              ;   in Loop: Header=BB4_51 Depth=1
	v_readlane_b32 s12, v42, 5
	v_readlane_b32 s5, v42, 4
.LBB4_567:                              ;   in Loop: Header=BB4_51 Depth=1
	v_mul_lo_u32 v2, v37, s19
	v_mul_lo_u32 v10, v36, s21
	v_mad_u64_u32 v[8:9], null, v36, s19, 0
	v_mov_b32_e32 v52, 0
	s_mov_b32 s17, 0
	s_delay_alu instid0(VALU_DEP_2) | instskip(NEXT) | instid1(VALU_DEP_3)
	v_add3_u32 v9, v9, v10, v2
	v_sub_co_u32 v10, vcc_lo, v38, v8
	s_delay_alu instid0(VALU_DEP_2) | instskip(NEXT) | instid1(VALU_DEP_1)
	v_sub_co_ci_u32_e32 v11, vcc_lo, v39, v9, vcc_lo
	v_cmp_lt_i64_e32 vcc_lo, v[36:37], v[10:11]
	v_cndmask_b32_e32 v10, v10, v36, vcc_lo
	s_delay_alu instid0(VALU_DEP_1) | instskip(NEXT) | instid1(VALU_DEP_1)
	v_max_i32_e32 v129, 0, v10
	v_add_nc_u32_e32 v2, 31, v129
	s_delay_alu instid0(VALU_DEP_1) | instskip(NEXT) | instid1(VALU_DEP_1)
	v_lshrrev_b32_e32 v2, 1, v2
	v_and_b32_e32 v11, 0x3ffffff0, v2
	v_cmp_lt_i32_e32 vcc_lo, 0, v10
	v_mov_b32_e32 v2, 0
	s_delay_alu instid0(VALU_DEP_3) | instskip(SKIP_1) | instid1(SALU_CYCLE_1)
	v_max_i32_e32 v50, s25, v11
	s_and_b32 s6, s34, vcc_lo
	s_and_saveexec_b32 s3, s6
	s_cbranch_execz .LBB4_781
; %bb.568:                              ;   in Loop: Header=BB4_51 Depth=1
	v_add_co_u32 v8, vcc_lo, v8, v48
	v_add_co_ci_u32_e32 v9, vcc_lo, v9, v49, vcc_lo
	v_mov_b32_e32 v52, 0
	s_mov_b32 s15, 1
	s_mov_b32 s30, -1
	s_delay_alu instid0(VALU_DEP_2)
	v_lshlrev_b64 v[54:55], 3, v[8:9]
	v_writelane_b32 v42, s3, 6
.LBB4_569:                              ;   Parent Loop BB4_51 Depth=1
                                        ; =>  This Loop Header: Depth=2
                                        ;       Child Loop BB4_578 Depth 3
                                        ;       Child Loop BB4_608 Depth 3
	;; [unrolled: 1-line block ×5, first 2 shown]
                                        ;         Child Loop BB4_666 Depth 4
                                        ;       Child Loop BB4_678 Depth 3
                                        ;       Child Loop BB4_684 Depth 3
                                        ;         Child Loop BB4_685 Depth 4
                                        ;       Child Loop BB4_701 Depth 3
                                        ;       Child Loop BB4_707 Depth 3
	;; [unrolled: 1-line block ×6, first 2 shown]
	s_and_saveexec_b32 s3, s0
	s_cbranch_execz .LBB4_572
; %bb.570:                              ;   in Loop: Header=BB4_569 Depth=2
	s_cbranch_execnz .LBB4_1502
; %bb.571:                              ;   in Loop: Header=BB4_569 Depth=2
	ds_load_2addr_b64 v[8:11], v0 offset1:1
	ds_load_b64 v[64:65], v0
	v_ashrrev_i32_e32 v53, 31, v52
	s_mov_b32 s6, s13
	s_delay_alu instid0(VALU_DEP_1)
	v_lshlrev_b64 v[66:67], 3, v[52:53]
	s_waitcnt lgkmcnt(1)
	v_add_co_u32 v2, vcc_lo, v8, v54
	v_add_co_ci_u32_e32 v9, vcc_lo, v9, v55, vcc_lo
	v_add_co_u32 v10, vcc_lo, v10, v54
	v_add_co_ci_u32_e32 v11, vcc_lo, v11, v55, vcc_lo
	s_waitcnt lgkmcnt(0)
	v_add_co_u32 v51, vcc_lo, v64, v54
	v_add_co_ci_u32_e32 v53, vcc_lo, v65, v55, vcc_lo
	v_add_co_u32 v8, vcc_lo, v2, v66
	v_add_co_ci_u32_e32 v9, vcc_lo, v9, v67, vcc_lo
	s_delay_alu instid0(VALU_DEP_4) | instskip(NEXT) | instid1(VALU_DEP_4)
	v_add_co_u32 v2, vcc_lo, v51, v66
	v_add_co_ci_u32_e32 v51, vcc_lo, v53, v67, vcc_lo
	v_cmp_ne_u64_e32 vcc_lo, 0, v[64:65]
	v_add_co_u32 v10, s13, v10, v66
	s_delay_alu instid0(VALU_DEP_1)
	v_add_co_ci_u32_e64 v11, s13, v11, v67, s13
	s_mov_b32 s13, s6
	v_dual_cndmask_b32 v65, 0, v51 :: v_dual_cndmask_b32 v64, 0, v2
	ds_store_b64 v0, v[8:9]
	ds_store_b64 v0, v[10:11]
	;; [unrolled: 1-line block ×3, first 2 shown]
.LBB4_572:                              ;   in Loop: Header=BB4_569 Depth=2
	s_or_b32 exec_lo, exec_lo, s3
	v_and_b32_e32 v2, 12, v30
	s_mov_b32 vcc_hi, -1
	s_mov_b32 s3, exec_lo
	s_delay_alu instid0(VALU_DEP_1)
	v_cmpx_ne_u32_e32 0, v2
	s_cbranch_execz .LBB4_586
; %bb.573:                              ;   in Loop: Header=BB4_569 Depth=2
	v_and_b32_e32 v2, 8, v30
	s_mov_b32 s6, s29
	s_mov_b32 s16, s30
	;; [unrolled: 1-line block ×4, first 2 shown]
	v_add_co_u32 v10, vcc_lo, v28, v2
	v_add_co_ci_u32_e32 v11, vcc_lo, 0, v29, vcc_lo
	v_add_co_u32 v8, vcc_lo, v22, 2
	v_add_co_ci_u32_e32 v9, vcc_lo, 0, v23, vcc_lo
	s_delay_alu instid0(VALU_DEP_1)
	v_cmp_lt_u64_e32 vcc_lo, v[10:11], v[8:9]
	v_mov_b32_e32 v10, 1
	s_and_saveexec_b32 s29, vcc_lo
	s_cbranch_execz .LBB4_585
; %bb.574:                              ;   in Loop: Header=BB4_569 Depth=2
	v_mov_b32_e32 v10, 0
	s_mov_b32 vcc_hi, 0
                                        ; implicit-def: $sgpr30
	s_branch .LBB4_578
.LBB4_575:                              ;   in Loop: Header=BB4_578 Depth=3
	s_or_b32 exec_lo, exec_lo, s38
	v_mov_b32_e32 v11, 0
	s_or_not1_b32 s37, s37, exec_lo
.LBB4_576:                              ;   in Loop: Header=BB4_578 Depth=3
	s_or_b32 exec_lo, exec_lo, s34
	s_delay_alu instid0(VALU_DEP_1) | instskip(SKIP_2) | instid1(SALU_CYCLE_1)
	v_mov_b32_e32 v10, v11
	s_and_not1_b32 vcc_lo, s30, exec_lo
	s_and_b32 s30, s37, exec_lo
	s_or_b32 s30, vcc_lo, s30
.LBB4_577:                              ;   in Loop: Header=BB4_578 Depth=3
	s_or_b32 exec_lo, exec_lo, s31
	s_waitcnt vmcnt(0) lgkmcnt(0)
	v_add_co_u32 v64, vcc_lo, v28, v2
	v_add_co_ci_u32_e32 v65, vcc_lo, 0, v29, vcc_lo
	s_xor_b32 s31, s30, -1
	s_delay_alu instid0(VALU_DEP_1) | instskip(SKIP_1) | instid1(SALU_CYCLE_1)
	v_cmp_ge_u64_e32 vcc_lo, v[64:65], v[8:9]
	s_or_b32 vcc_lo, s31, vcc_lo
	s_and_b32 vcc_lo, exec_lo, vcc_lo
	s_delay_alu instid0(SALU_CYCLE_1) | instskip(NEXT) | instid1(SALU_CYCLE_1)
	s_or_b32 vcc_hi, vcc_lo, vcc_hi
	s_and_not1_b32 exec_lo, exec_lo, vcc_hi
	s_cbranch_execz .LBB4_584
.LBB4_578:                              ;   Parent Loop BB4_51 Depth=1
                                        ;     Parent Loop BB4_569 Depth=2
                                        ; =>    This Inner Loop Header: Depth=3
	s_sleep 1
	flat_load_b64 v[28:29], v[20:21] glc
	v_and_b32_e32 v11, 64, v30
	s_and_not1_b32 s30, s30, exec_lo
	s_mov_b32 s31, exec_lo
	s_delay_alu instid0(VALU_DEP_1)
	v_cmpx_eq_u32_e32 0, v11
	s_cbranch_execz .LBB4_577
; %bb.579:                              ;   in Loop: Header=BB4_578 Depth=3
	v_add_nc_u32_e32 v11, 1, v10
	s_mov_b32 s37, -1
	s_mov_b32 s34, exec_lo
	v_cmpx_lt_i32_e32 0x270e, v10
	s_cbranch_execz .LBB4_576
; %bb.580:                              ;   in Loop: Header=BB4_578 Depth=3
	s_cbranch_execnz .LBB4_1528
; %bb.581:                              ;   in Loop: Header=BB4_578 Depth=3
	ds_load_b64 v[10:11], v0
	s_mov_b32 s38, exec_lo
	s_waitcnt vmcnt(0) lgkmcnt(0)
	s_waitcnt_vscnt null, 0x0
	flat_load_b32 v10, v[10:11] glc
	s_waitcnt vmcnt(0) lgkmcnt(0)
	buffer_gl1_inv
	buffer_gl0_inv
	v_cmpx_ne_u32_e32 0, v10
	s_cbranch_execz .LBB4_575
; %bb.582:                              ;   in Loop: Header=BB4_578 Depth=3
	ds_store_b32 v0, v10
	s_cbranch_execnz .LBB4_1582
; %bb.583:                              ;   in Loop: Header=BB4_578 Depth=3
	v_or_b32_e32 v30, 64, v30
	s_xor_b32 s37, exec_lo, -1
	s_branch .LBB4_575
.LBB4_584:                              ;   in Loop: Header=BB4_569 Depth=2
	s_or_b32 exec_lo, exec_lo, vcc_hi
	v_and_b32_e32 v10, 12, v30
.LBB4_585:                              ;   in Loop: Header=BB4_569 Depth=2
	s_or_b32 exec_lo, exec_lo, s29
	s_delay_alu instid0(VALU_DEP_1)
	v_cmp_eq_u32_e32 vcc_lo, 0, v10
	s_mov_b32 s31, s28
	s_mov_b32 s34, s20
	;; [unrolled: 1-line block ×4, first 2 shown]
	s_or_not1_b32 vcc_hi, vcc_lo, exec_lo
	;;#ASMSTART
	s_wakeup
	;;#ASMEND
.LBB4_586:                              ;   in Loop: Header=BB4_569 Depth=2
	s_or_b32 exec_lo, exec_lo, s3
	v_sub_nc_u32_e32 v2, v129, v52
	s_xor_b32 s6, vcc_hi, -1
	s_delay_alu instid0(VALU_DEP_1)
	v_min_i32_e32 v50, v50, v2
	s_and_saveexec_b32 s3, s6
	s_cbranch_execz .LBB4_599
; %bb.587:                              ;   in Loop: Header=BB4_569 Depth=2
	v_and_b32_e32 v2, 0x108, v30
	s_mov_b32 vcc_hi, s21
	s_mov_b32 s21, s1
	s_mov_b32 s1, s15
	;; [unrolled: 1-line block ×3, first 2 shown]
	v_cmp_ne_u32_e32 vcc_lo, 0x108, v2
	v_and_b32_e32 v2, 7, v22
	s_mov_b32 s26, s23
	s_mov_b32 s23, s22
	;; [unrolled: 1-line block ×10, first 2 shown]
	s_and_saveexec_b32 s13, vcc_lo
	s_delay_alu instid0(SALU_CYCLE_1) | instskip(NEXT) | instid1(SALU_CYCLE_1)
	s_xor_b32 s13, exec_lo, s13
	s_and_not1_saveexec_b32 s13, s13
	s_cbranch_execz .LBB4_589
; %bb.588:                              ;   in Loop: Header=BB4_569 Depth=2
	v_ashrrev_i32_e32 v51, 31, v50
	v_mad_u64_u32 v[8:9], null, v2, 24, v[6:7]
	s_delay_alu instid0(VALU_DEP_2)
	v_lshlrev_b64 v[10:11], 3, v[50:51]
	flat_store_b64 v[8:9], v[10:11] offset:8
.LBB4_589:                              ;   in Loop: Header=BB4_569 Depth=2
	s_or_b32 exec_lo, exec_lo, s13
	v_and_b32_e32 v8, 0x100, v30
	s_mov_b32 s13, -1
	s_delay_alu instid0(VALU_DEP_1)
	v_cmp_ne_u32_e32 vcc_lo, 0, v8
                                        ; implicit-def: $vgpr8_vgpr9
	s_and_saveexec_b32 s29, vcc_lo
	s_cbranch_execnz .LBB4_592
; %bb.590:                              ;   in Loop: Header=BB4_569 Depth=2
	s_or_b32 exec_lo, exec_lo, s29
	s_and_saveexec_b32 s29, s13
	s_cbranch_execnz .LBB4_595
.LBB4_591:                              ;   in Loop: Header=BB4_569 Depth=2
	s_or_b32 exec_lo, exec_lo, s29
	s_cbranch_execnz .LBB4_1522
	s_branch .LBB4_596
.LBB4_592:                              ;   in Loop: Header=BB4_569 Depth=2
	v_mad_u64_u32 v[10:11], null, v2, 24, v[6:7]
	s_delay_alu instid0(VALU_DEP_1) | instskip(NEXT) | instid1(VALU_DEP_1)
	v_mov_b32_e32 v8, v11
	v_mad_u64_u32 v[64:65], null, v3, 24, v[8:9]
	s_delay_alu instid0(VALU_DEP_1) | instskip(SKIP_4) | instid1(VALU_DEP_1)
	v_mov_b32_e32 v11, v64
	flat_load_b32 v8, v[10:11]
	s_waitcnt vmcnt(0) lgkmcnt(0)
	v_cmp_ne_u32_e32 vcc_lo, 1, v8
	v_cmp_eq_u32_e64 s13, 1, v8
                                        ; implicit-def: $vgpr8_vgpr9
	s_and_saveexec_b32 s30, s13
	s_cbranch_execz .LBB4_594
; %bb.593:                              ;   in Loop: Header=BB4_569 Depth=2
	flat_load_b32 v8, v[10:11] offset:4 glc
	s_waitcnt vmcnt(0) lgkmcnt(0)
	v_ashrrev_i32_e32 v9, 31, v8
	s_delay_alu instid0(VALU_DEP_1)
	v_lshrrev_b64 v[8:9], 3, v[8:9]
.LBB4_594:                              ;   in Loop: Header=BB4_569 Depth=2
	s_or_b32 exec_lo, exec_lo, s30
	s_delay_alu instid0(SALU_CYCLE_1)
	s_or_not1_b32 s13, vcc_lo, exec_lo
	s_or_b32 exec_lo, exec_lo, s29
	s_and_saveexec_b32 s29, s13
	s_cbranch_execz .LBB4_591
.LBB4_595:                              ;   in Loop: Header=BB4_569 Depth=2
	v_mul_lo_u32 v10, v3, v81
	v_mul_lo_u32 v11, v2, v82
	v_mad_u64_u32 v[8:9], null, v2, v81, 0
	s_delay_alu instid0(VALU_DEP_1)
	v_add3_u32 v9, v9, v11, v10
	s_or_b32 exec_lo, exec_lo, s29
	s_cbranch_execnz .LBB4_1522
.LBB4_596:                              ;   in Loop: Header=BB4_569 Depth=2
	s_delay_alu instid0(VALU_DEP_1) | instskip(SKIP_2) | instid1(VALU_DEP_2)
	v_lshlrev_b64 v[8:9], 3, v[8:9]
	v_and_b32_e32 v2, 0x2000, v30
	s_mov_b32 s13, exec_lo
	v_add_co_u32 v8, vcc_lo, v24, v8
	s_delay_alu instid0(VALU_DEP_3)
	v_add_co_ci_u32_e32 v9, vcc_lo, v25, v9, vcc_lo
	ds_store_b64 v0, v[8:9]
	v_cmpx_ne_u32_e32 0, v2
	s_cbranch_execz .LBB4_598
; %bb.597:                              ;   in Loop: Header=BB4_569 Depth=2
	ds_load_b64 v[8:9], v0 offset:584
	s_waitcnt lgkmcnt(0)
	v_add_co_u32 v8, vcc_lo, v8, 1
	v_add_co_ci_u32_e32 v9, vcc_lo, 0, v9, vcc_lo
	ds_store_b64 v0, v[8:9] offset:584
.LBB4_598:                              ;   in Loop: Header=BB4_569 Depth=2
	s_or_b32 exec_lo, exec_lo, s13
	v_add_co_u32 v22, vcc_lo, v22, 2
	v_add_co_ci_u32_e32 v23, vcc_lo, 0, v23, vcc_lo
	s_mov_b32 s1, s2
	s_mov_b32 s13, s4
	;; [unrolled: 1-line block ×13, first 2 shown]
	s_mov_b32 s21, vcc_hi
.LBB4_599:                              ;   in Loop: Header=BB4_569 Depth=2
	v_writelane_b32 v42, s30, 7
	v_writelane_b32 v42, s15, 8
	;; [unrolled: 1-line block ×8, first 2 shown]
	s_or_b32 exec_lo, exec_lo, s3
	s_mov_b32 vcc_hi, s36
	s_and_saveexec_b32 s6, s36
	s_cbranch_execz .LBB4_621
; %bb.600:                              ;   in Loop: Header=BB4_569 Depth=2
	s_and_saveexec_b32 s3, s4
	s_delay_alu instid0(SALU_CYCLE_1)
	s_xor_b32 s3, exec_lo, s3
	s_cbranch_execz .LBB4_618
; %bb.601:                              ;   in Loop: Header=BB4_569 Depth=2
	s_and_saveexec_b32 s13, s1
	s_cbranch_execz .LBB4_617
; %bb.602:                              ;   in Loop: Header=BB4_569 Depth=2
	s_mov_b32 s15, exec_lo
	s_mov_b32 s14, exec_lo
	v_mbcnt_lo_u32_b32 v2, s15, 0
	s_waitcnt lgkmcnt(0)
	s_waitcnt_vscnt null, 0x0
	buffer_gl1_inv
	buffer_gl0_inv
	v_cmpx_eq_u32_e32 0, v2
	s_cbranch_execz .LBB4_604
; %bb.603:                              ;   in Loop: Header=BB4_569 Depth=2
	s_bcnt1_i32_b32 s15, s15
	s_delay_alu instid0(SALU_CYCLE_1)
	v_mov_b32_e32 v2, s15
	ds_add_u64 v0, v[2:3]
	s_cbranch_execnz .LBB4_1638
.LBB4_604:                              ;   in Loop: Header=BB4_569 Depth=2
	s_or_b32 exec_lo, exec_lo, s14
	s_cbranch_execnz .LBB4_1612
; %bb.605:                              ;   in Loop: Header=BB4_569 Depth=2
	ds_load_b64 v[8:9], v0
	v_add_co_u32 v12, vcc_lo, v12, v83
	v_add_co_ci_u32_e32 v13, vcc_lo, 0, v13, vcc_lo
	s_mov_b32 s14, exec_lo
	s_waitcnt lgkmcnt(0)
	s_delay_alu instid0(VALU_DEP_1)
	v_cmpx_lt_u64_e64 v[8:9], v[12:13]
	s_cbranch_execz .LBB4_616
; %bb.606:                              ;   in Loop: Header=BB4_569 Depth=2
	s_mov_b32 s15, 0
	s_mov_b32 s20, 0
                                        ; implicit-def: $sgpr16
                                        ; implicit-def: $sgpr17
	s_branch .LBB4_608
.LBB4_607:                              ;   in Loop: Header=BB4_608 Depth=3
	s_or_b32 exec_lo, exec_lo, s30
	s_delay_alu instid0(SALU_CYCLE_1) | instskip(NEXT) | instid1(SALU_CYCLE_1)
	s_and_b32 s28, exec_lo, vcc_lo
	s_or_b32 s15, s28, s15
	s_and_not1_b32 s16, s16, exec_lo
	s_and_b32 s28, s17, exec_lo
	s_delay_alu instid0(SALU_CYCLE_1)
	s_or_b32 s16, s16, s28
	s_and_not1_b32 exec_lo, exec_lo, s15
	s_cbranch_execz .LBB4_614
.LBB4_608:                              ;   Parent Loop BB4_51 Depth=1
                                        ;     Parent Loop BB4_569 Depth=2
                                        ; =>    This Inner Loop Header: Depth=3
	s_add_i32 s20, s20, 1
                                        ; implicit-def: $sgpr30
	s_delay_alu instid0(SALU_CYCLE_1) | instskip(SKIP_1) | instid1(SALU_CYCLE_1)
	s_cmpk_lg_i32 s20, 0x2710
	s_cselect_b32 s28, -1, 0
	s_and_b32 vcc_lo, exec_lo, s28
	s_cbranch_vccz .LBB4_612
.LBB4_609:                              ;   in Loop: Header=BB4_608 Depth=3
	s_and_not1_b32 s17, s17, exec_lo
	s_and_b32 s30, s30, exec_lo
	s_mov_b32 vcc_lo, -1
	s_or_b32 s17, s17, s30
	s_and_saveexec_b32 s30, s28
	s_cbranch_execz .LBB4_607
; %bb.610:                              ;   in Loop: Header=BB4_608 Depth=3
	s_sleep 1
	s_cbranch_execnz .LBB4_1682
; %bb.611:                              ;   in Loop: Header=BB4_608 Depth=3
	ds_load_b64 v[8:9], v0
	s_and_not1_b32 s17, s17, exec_lo
	s_waitcnt lgkmcnt(0)
	v_cmp_ge_u64_e32 vcc_lo, v[8:9], v[12:13]
	s_or_not1_b32 vcc_lo, vcc_lo, exec_lo
	s_branch .LBB4_607
.LBB4_612:                              ;   in Loop: Header=BB4_608 Depth=3
	s_cbranch_execnz .LBB4_1694
; %bb.613:                              ;   in Loop: Header=BB4_608 Depth=3
	ds_load_b64 v[8:9], v0
	s_and_not1_b32 s28, s28, exec_lo
	s_mov_b32 s20, 0
	s_mov_b32 s30, -1
	s_waitcnt lgkmcnt(0)
	flat_load_b32 v2, v[8:9] glc
	s_waitcnt vmcnt(0) lgkmcnt(0)
	buffer_gl1_inv
	buffer_gl0_inv
	v_cmp_eq_u32_e32 vcc_lo, 0, v2
	s_and_b32 vcc_lo, vcc_lo, exec_lo
	s_delay_alu instid0(SALU_CYCLE_1)
	s_or_b32 s28, s28, vcc_lo
	s_branch .LBB4_609
.LBB4_614:                              ;   in Loop: Header=BB4_569 Depth=2
	s_or_b32 exec_lo, exec_lo, s15
	s_and_saveexec_b32 s15, s16
	s_delay_alu instid0(SALU_CYCLE_1)
	s_xor_b32 s15, exec_lo, s15
	s_cbranch_execz .LBB4_616
; %bb.615:                              ;   in Loop: Header=BB4_569 Depth=2
	ds_store_b32 v0, v128
	s_cbranch_execnz .LBB4_1892
.LBB4_616:                              ;   in Loop: Header=BB4_569 Depth=2
	s_or_b32 exec_lo, exec_lo, s14
	;;#ASMSTART
	s_wakeup
	;;#ASMEND
.LBB4_617:                              ;   in Loop: Header=BB4_569 Depth=2
	s_or_b32 exec_lo, exec_lo, s13
.LBB4_618:                              ;   in Loop: Header=BB4_569 Depth=2
	s_and_not1_saveexec_b32 s3, s3
	s_cbranch_execz .LBB4_620
; %bb.619:                              ;   in Loop: Header=BB4_569 Depth=2
	s_waitcnt lgkmcnt(0)
	s_waitcnt_vscnt null, 0x0
	buffer_gl1_inv
	buffer_gl0_inv
	s_barrier
.LBB4_620:                              ;   in Loop: Header=BB4_569 Depth=2
	s_or_b32 exec_lo, exec_lo, s3
.LBB4_621:                              ;   in Loop: Header=BB4_569 Depth=2
	s_delay_alu instid0(SALU_CYCLE_1)
	s_or_b32 exec_lo, exec_lo, s6
	s_cbranch_execnz .LBB4_1508
; %bb.622:                              ;   in Loop: Header=BB4_569 Depth=2
	ds_load_b32 v8, v0
	v_and_b32_e32 v2, 0x4000, v30
	s_xor_b32 s3, s2, -1
	s_delay_alu instid0(VALU_DEP_1) | instskip(SKIP_1) | instid1(SALU_CYCLE_1)
	v_cmp_ne_u32_e32 vcc_lo, 0, v2
	s_and_b32 s3, s3, vcc_lo
	s_and_saveexec_b32 s6, s3
	s_cbranch_execz .LBB4_644
; %bb.623:                              ;   in Loop: Header=BB4_569 Depth=2
	s_and_saveexec_b32 s3, s4
	s_delay_alu instid0(SALU_CYCLE_1)
	s_xor_b32 s3, exec_lo, s3
	s_cbranch_execz .LBB4_641
; %bb.624:                              ;   in Loop: Header=BB4_569 Depth=2
	s_and_saveexec_b32 s13, s1
	s_cbranch_execz .LBB4_640
; %bb.625:                              ;   in Loop: Header=BB4_569 Depth=2
	s_mov_b32 s15, exec_lo
	s_mov_b32 s14, exec_lo
	v_mbcnt_lo_u32_b32 v2, s15, 0
	s_waitcnt lgkmcnt(0)
	s_waitcnt_vscnt null, 0x0
	buffer_gl1_inv
	buffer_gl0_inv
	v_cmpx_eq_u32_e32 0, v2
	s_cbranch_execz .LBB4_627
; %bb.626:                              ;   in Loop: Header=BB4_569 Depth=2
	s_bcnt1_i32_b32 s15, s15
	s_delay_alu instid0(SALU_CYCLE_1)
	v_mov_b32_e32 v2, s15
	ds_add_u64 v0, v[2:3]
	s_cbranch_execnz .LBB4_1676
.LBB4_627:                              ;   in Loop: Header=BB4_569 Depth=2
	s_or_b32 exec_lo, exec_lo, s14
	s_cbranch_execnz .LBB4_1648
; %bb.628:                              ;   in Loop: Header=BB4_569 Depth=2
	ds_load_b64 v[9:10], v0
	v_add_co_u32 v12, vcc_lo, v12, v83
	v_add_co_ci_u32_e32 v13, vcc_lo, 0, v13, vcc_lo
	s_mov_b32 s14, exec_lo
	s_waitcnt lgkmcnt(0)
	s_delay_alu instid0(VALU_DEP_1)
	v_cmpx_lt_u64_e64 v[9:10], v[12:13]
	s_cbranch_execz .LBB4_639
; %bb.629:                              ;   in Loop: Header=BB4_569 Depth=2
	s_mov_b32 s15, 0
	s_mov_b32 s20, 0
                                        ; implicit-def: $sgpr16
                                        ; implicit-def: $sgpr17
	s_branch .LBB4_631
.LBB4_630:                              ;   in Loop: Header=BB4_631 Depth=3
	s_or_b32 exec_lo, exec_lo, s30
	s_delay_alu instid0(SALU_CYCLE_1) | instskip(NEXT) | instid1(SALU_CYCLE_1)
	s_and_b32 s28, exec_lo, vcc_lo
	s_or_b32 s15, s28, s15
	s_and_not1_b32 s16, s16, exec_lo
	s_and_b32 s28, s17, exec_lo
	s_delay_alu instid0(SALU_CYCLE_1)
	s_or_b32 s16, s16, s28
	s_and_not1_b32 exec_lo, exec_lo, s15
	s_cbranch_execz .LBB4_637
.LBB4_631:                              ;   Parent Loop BB4_51 Depth=1
                                        ;     Parent Loop BB4_569 Depth=2
                                        ; =>    This Inner Loop Header: Depth=3
	s_add_i32 s20, s20, 1
                                        ; implicit-def: $sgpr30
	s_delay_alu instid0(SALU_CYCLE_1) | instskip(SKIP_1) | instid1(SALU_CYCLE_1)
	s_cmpk_lg_i32 s20, 0x2710
	s_cselect_b32 s28, -1, 0
	s_and_b32 vcc_lo, exec_lo, s28
	s_cbranch_vccz .LBB4_635
.LBB4_632:                              ;   in Loop: Header=BB4_631 Depth=3
	s_and_not1_b32 s17, s17, exec_lo
	s_and_b32 s30, s30, exec_lo
	s_mov_b32 vcc_lo, -1
	s_or_b32 s17, s17, s30
	s_and_saveexec_b32 s30, s28
	s_cbranch_execz .LBB4_630
; %bb.633:                              ;   in Loop: Header=BB4_631 Depth=3
	s_sleep 1
	s_cbranch_execnz .LBB4_1736
; %bb.634:                              ;   in Loop: Header=BB4_631 Depth=3
	ds_load_b64 v[9:10], v0
	s_and_not1_b32 s17, s17, exec_lo
	s_waitcnt lgkmcnt(0)
	v_cmp_ge_u64_e32 vcc_lo, v[9:10], v[12:13]
	s_or_not1_b32 vcc_lo, vcc_lo, exec_lo
	s_branch .LBB4_630
.LBB4_635:                              ;   in Loop: Header=BB4_631 Depth=3
	s_cbranch_execnz .LBB4_1750
; %bb.636:                              ;   in Loop: Header=BB4_631 Depth=3
	ds_load_b64 v[9:10], v0
	s_and_not1_b32 s28, s28, exec_lo
	s_mov_b32 s20, 0
	s_mov_b32 s30, -1
	s_waitcnt lgkmcnt(0)
	flat_load_b32 v2, v[9:10] glc
	s_waitcnt vmcnt(0) lgkmcnt(0)
	buffer_gl1_inv
	buffer_gl0_inv
	v_cmp_eq_u32_e32 vcc_lo, 0, v2
	s_and_b32 vcc_lo, vcc_lo, exec_lo
	s_delay_alu instid0(SALU_CYCLE_1)
	s_or_b32 s28, s28, vcc_lo
	s_branch .LBB4_632
.LBB4_637:                              ;   in Loop: Header=BB4_569 Depth=2
	s_or_b32 exec_lo, exec_lo, s15
	s_and_saveexec_b32 s15, s16
	s_delay_alu instid0(SALU_CYCLE_1)
	s_xor_b32 s15, exec_lo, s15
	s_cbranch_execz .LBB4_639
; %bb.638:                              ;   in Loop: Header=BB4_569 Depth=2
	ds_store_b32 v0, v128
	s_cbranch_execnz .LBB4_1916
.LBB4_639:                              ;   in Loop: Header=BB4_569 Depth=2
	s_or_b32 exec_lo, exec_lo, s14
	;;#ASMSTART
	s_wakeup
	;;#ASMEND
.LBB4_640:                              ;   in Loop: Header=BB4_569 Depth=2
	s_or_b32 exec_lo, exec_lo, s13
.LBB4_641:                              ;   in Loop: Header=BB4_569 Depth=2
	s_and_not1_saveexec_b32 s3, s3
	s_cbranch_execz .LBB4_643
; %bb.642:                              ;   in Loop: Header=BB4_569 Depth=2
	s_waitcnt lgkmcnt(0)
	s_waitcnt_vscnt null, 0x0
	buffer_gl1_inv
	buffer_gl0_inv
	s_barrier
.LBB4_643:                              ;   in Loop: Header=BB4_569 Depth=2
	s_or_b32 exec_lo, exec_lo, s3
.LBB4_644:                              ;   in Loop: Header=BB4_569 Depth=2
	s_delay_alu instid0(SALU_CYCLE_1)
	s_or_b32 exec_lo, exec_lo, s6
	s_cbranch_execnz .LBB4_1542
; %bb.645:                              ;   in Loop: Header=BB4_569 Depth=2
	ds_load_b64 v[9:10], v0
	v_mov_b32_e32 v51, 0
	s_waitcnt lgkmcnt(0)
	v_cmp_eq_u64_e32 vcc_lo, 0, v[9:10]
	s_or_b32 s3, vcc_lo, vcc_lo
	s_delay_alu instid0(SALU_CYCLE_1)
	s_and_b32 vcc_lo, exec_lo, s3
	s_cbranch_vccnz .LBB4_727
; %bb.646:                              ;   in Loop: Header=BB4_569 Depth=2
	v_cmp_eq_u32_e32 vcc_lo, 0, v8
	s_cbranch_execnz .LBB4_1604
; %bb.647:                              ;   in Loop: Header=BB4_569 Depth=2
	ds_load_b64 v[8:9], v0
	v_cndmask_b32_e32 v51, 0, v50, vcc_lo
	s_mov_b32 s3, -1
	s_delay_alu instid0(VALU_DEP_1)
	v_lshlrev_b32_e32 v2, 3, v51
	s_waitcnt lgkmcnt(0)
	v_cmp_ne_u64_e32 vcc_lo, 0, v[8:9]
	v_readfirstlane_b32 s30, v8
	s_cbranch_vccz .LBB4_689
; %bb.648:                              ;   in Loop: Header=BB4_569 Depth=2
	s_and_saveexec_b32 s6, s12
	s_cbranch_execz .LBB4_650
; %bb.649:                              ;   in Loop: Header=BB4_569 Depth=2
	ds_load_b32 v8, v0 offset:720
	s_waitcnt lgkmcnt(0)
	v_and_b32_e32 v8, 15, v8
	s_delay_alu instid0(VALU_DEP_1)
	v_cmp_eq_u32_e32 vcc_lo, 0, v8
	s_or_not1_b32 s3, vcc_lo, exec_lo
.LBB4_650:                              ;   in Loop: Header=BB4_569 Depth=2
	s_or_b32 exec_lo, exec_lo, s6
	s_and_saveexec_b32 s6, s12
	s_cbranch_execz .LBB4_652
; %bb.651:                              ;   in Loop: Header=BB4_569 Depth=2
	ds_load_b32 v8, v0 offset:784
	s_waitcnt lgkmcnt(0)
	v_and_b32_e32 v8, 15, v8
	s_delay_alu instid0(VALU_DEP_1) | instskip(SKIP_3) | instid1(SALU_CYCLE_1)
	v_cmp_eq_u32_e32 vcc_lo, 0, v8
	s_and_b32 s13, s3, vcc_lo
	s_and_not1_b32 s3, s3, exec_lo
	s_and_b32 s13, s13, exec_lo
	s_or_b32 s3, s3, s13
.LBB4_652:                              ;   in Loop: Header=BB4_569 Depth=2
	s_or_b32 exec_lo, exec_lo, s6
	s_xor_b32 s3, s3, -1
	s_delay_alu instid0(SALU_CYCLE_1) | instskip(SKIP_1) | instid1(VALU_DEP_1)
	v_cndmask_b32_e64 v8, 0, 1, s3
	;;#ASMSTART
	;;#ASMEND
	v_cmp_ne_u32_e32 vcc_lo, 0, v8
	s_mov_b32 s3, -1
	s_cbranch_vccz .LBB4_654
; %bb.653:                              ;   in Loop: Header=BB4_569 Depth=2
	s_bitcmp1_b32 s30, 0
	s_mov_b32 s3, 0
	s_mov_b32 s31, -1
	s_mov_b32 s6, 0
	s_cselect_b32 s13, -1, 0
	s_branch .LBB4_655
.LBB4_654:                              ;   in Loop: Header=BB4_569 Depth=2
	s_mov_b32 s31, 0
                                        ; implicit-def: $sgpr6
                                        ; implicit-def: $sgpr13
.LBB4_655:                              ;   in Loop: Header=BB4_569 Depth=2
	s_and_not1_b32 vcc_lo, exec_lo, s3
	s_cbranch_vccnz .LBB4_673
; %bb.656:                              ;   in Loop: Header=BB4_569 Depth=2
	v_ashrrev_i32_e32 v8, 31, v2
	s_bitcmp1_b32 s30, 0
	s_mov_b32 s3, exec_lo
	s_cselect_b32 s13, -1, 0
	s_delay_alu instid0(VALU_DEP_1) | instskip(NEXT) | instid1(VALU_DEP_1)
	v_lshrrev_b32_e32 v8, 22, v8
	v_add_nc_u32_e32 v8, v2, v8
	s_delay_alu instid0(VALU_DEP_1) | instskip(NEXT) | instid1(VALU_DEP_1)
	v_ashrrev_i32_e32 v53, 10, v8
	v_sub_nc_u32_e32 v70, v53, v84
	s_delay_alu instid0(VALU_DEP_1)
	v_cmpx_lt_i32_e32 0, v70
	s_cbranch_execz .LBB4_661
; %bb.657:                              ;   in Loop: Header=BB4_569 Depth=2
	s_cbranch_execnz .LBB4_1756
; %bb.658:                              ;   in Loop: Header=BB4_569 Depth=2
	ds_load_b128 v[8:11], v0
	s_mov_b32 s6, 0
	s_waitcnt lgkmcnt(0)
	v_add_co_u32 v8, vcc_lo, v8, v116
	v_add_co_ci_u32_e32 v9, vcc_lo, v9, v117, vcc_lo
	v_add_co_u32 v10, vcc_lo, v10, v116
	v_add_co_ci_u32_e32 v11, vcc_lo, v11, v117, vcc_lo
	s_delay_alu instid0(VALU_DEP_3) | instskip(NEXT) | instid1(VALU_DEP_2)
	v_dual_mov_b32 v65, v9 :: v_dual_mov_b32 v64, v8
	v_dual_mov_b32 v67, v11 :: v_dual_mov_b32 v66, v10
.LBB4_659:                              ;   Parent Loop BB4_51 Depth=1
                                        ;     Parent Loop BB4_569 Depth=2
                                        ; =>    This Inner Loop Header: Depth=3
	global_load_b128 v[130:133], v[10:11], off slc dlc
	global_load_b128 v[144:147], v[8:9], off slc dlc
	global_load_b128 v[148:151], v[10:11], off offset:512 slc dlc
	global_load_b128 v[160:163], v[8:9], off offset:512 slc dlc
	v_add_co_u32 v8, vcc_lo, v8, v118
	v_sub_nc_u32_e32 v70, v70, v83
	v_add_co_ci_u32_e32 v9, vcc_lo, v9, v119, vcc_lo
	v_add_co_u32 v10, vcc_lo, v10, v118
	v_add_co_ci_u32_e32 v11, vcc_lo, v11, v119, vcc_lo
	s_delay_alu instid0(VALU_DEP_4)
	v_cmp_gt_i32_e32 vcc_lo, 1, v70
	s_or_b32 s6, vcc_lo, s6
	s_waitcnt vmcnt(3)
	v_max_f64 v[68:69], v[130:131], v[130:131]
	s_waitcnt vmcnt(2)
	v_max_f64 v[130:131], v[144:145], v[144:145]
	v_max_f64 v[132:133], v[132:133], v[132:133]
	;; [unrolled: 1-line block ×3, first 2 shown]
	s_waitcnt vmcnt(1)
	v_max_f64 v[144:145], v[148:149], v[148:149]
	s_waitcnt vmcnt(0)
	v_max_f64 v[146:147], v[160:161], v[160:161]
	v_max_f64 v[148:149], v[150:151], v[150:151]
	;; [unrolled: 1-line block ×3, first 2 shown]
	v_min_f64 v[160:161], v[130:131], v[68:69]
	v_max_f64 v[68:69], v[130:131], v[68:69]
	v_min_f64 v[162:163], v[134:135], v[132:133]
	v_max_f64 v[132:133], v[134:135], v[132:133]
	;; [unrolled: 2-line block ×4, first 2 shown]
	v_cndmask_b32_e64 v131, v161, v69, s13
	v_cndmask_b32_e64 v130, v160, v68, s13
	;; [unrolled: 1-line block ×8, first 2 shown]
	s_clause 0x1
	global_store_b128 v[64:65], v[130:133], off glc slc dlc
	global_store_b128 v[64:65], v[144:147], off offset:512 glc slc dlc
	s_clause 0x1
	global_store_b128 v[66:67], v[130:133], off glc slc dlc
	global_store_b128 v[66:67], v[144:147], off offset:512 glc slc dlc
	v_add_co_u32 v64, s14, v64, v118
	s_delay_alu instid0(VALU_DEP_1) | instskip(SKIP_1) | instid1(VALU_DEP_1)
	v_add_co_ci_u32_e64 v65, s14, v65, v119, s14
	v_add_co_u32 v66, s14, v66, v118
	v_add_co_ci_u32_e64 v67, s14, v67, v119, s14
	s_and_not1_b32 exec_lo, exec_lo, s6
	s_cbranch_execnz .LBB4_659
; %bb.660:                              ;   in Loop: Header=BB4_569 Depth=2
	s_or_b32 exec_lo, exec_lo, s6
.LBB4_661:                              ;   in Loop: Header=BB4_569 Depth=2
	s_delay_alu instid0(SALU_CYCLE_1) | instskip(SKIP_2) | instid1(VALU_DEP_1)
	s_or_b32 exec_lo, exec_lo, s3
	v_lshlrev_b32_e32 v130, 10, v53
	s_mov_b32 s6, exec_lo
                                        ; implicit-def: $vgpr53
                                        ; implicit-def: $vgpr68
                                        ; implicit-def: $vgpr69
                                        ; implicit-def: $vgpr8
	v_cmpx_ne_u32_e64 v2, v130
	s_cbranch_execz .LBB4_672
; %bb.662:                              ;   in Loop: Header=BB4_569 Depth=2
	v_lshlrev_b32_e32 v8, 5, v70
	v_sub_nc_u32_e32 v10, v2, v130
	s_mov_b32 s3, exec_lo
	s_delay_alu instid0(VALU_DEP_2) | instskip(NEXT) | instid1(VALU_DEP_2)
	v_sub_nc_u32_e32 v8, v85, v8
	v_ashrrev_i32_e32 v11, 31, v10
	s_delay_alu instid0(VALU_DEP_2) | instskip(NEXT) | instid1(VALU_DEP_2)
	v_ashrrev_i32_e32 v9, 31, v8
	v_lshrrev_b32_e32 v11, 23, v11
	s_delay_alu instid0(VALU_DEP_2) | instskip(NEXT) | instid1(VALU_DEP_2)
	v_lshrrev_b32_e32 v9, 27, v9
	v_add_nc_u32_e32 v11, v10, v11
	s_delay_alu instid0(VALU_DEP_2) | instskip(NEXT) | instid1(VALU_DEP_2)
	v_add_nc_u32_e32 v9, v8, v9
	v_and_b32_e32 v131, 0xfffffe00, v11
	v_ashrrev_i32_e32 v11, 9, v11
	s_delay_alu instid0(VALU_DEP_3) | instskip(NEXT) | instid1(VALU_DEP_3)
	v_and_b32_e32 v53, 0xffffffe0, v9
	v_sub_nc_u32_e32 v133, v10, v131
	v_ashrrev_i32_e32 v9, 5, v9
	s_delay_alu instid0(VALU_DEP_3) | instskip(NEXT) | instid1(VALU_DEP_3)
	v_sub_nc_u32_e32 v132, v8, v53
	v_cmp_lt_i32_e64 s14, 15, v133
	s_delay_alu instid0(VALU_DEP_2) | instskip(NEXT) | instid1(VALU_DEP_2)
	v_lshlrev_b32_e32 v8, 4, v132
	v_add_co_ci_u32_e64 v11, vcc_lo, 0, v11, s14
	s_delay_alu instid0(VALU_DEP_2) | instskip(NEXT) | instid1(VALU_DEP_2)
	v_lshl_add_u32 v8, v9, 9, v8
	v_sub_nc_u32_e32 v134, v11, v9
	s_delay_alu instid0(VALU_DEP_2) | instskip(NEXT) | instid1(VALU_DEP_1)
	v_sub_nc_u32_e32 v53, v10, v8
	v_cmpx_lt_i32_e32 15, v53
	s_cbranch_execz .LBB4_669
; %bb.663:                              ;   in Loop: Header=BB4_569 Depth=2
	s_cbranch_execnz .LBB4_1820
; %bb.664:                              ;   in Loop: Header=BB4_569 Depth=2
	ds_load_b128 v[64:67], v0
	v_add_nc_u32_e32 v8, v8, v130
	s_mov_b32 s20, 0
	s_delay_alu instid0(VALU_DEP_1) | instskip(SKIP_2) | instid1(VALU_DEP_2)
	v_ashrrev_i32_e32 v9, 31, v8
	s_waitcnt lgkmcnt(0)
	v_add_co_u32 v64, vcc_lo, v64, v8
	v_add_co_ci_u32_e32 v65, vcc_lo, v65, v9, vcc_lo
	s_delay_alu instid0(VALU_DEP_1) | instskip(SKIP_2) | instid1(VALU_DEP_1)
	v_mov_b32_e32 v69, v65
	v_add_co_u32 v66, vcc_lo, v66, v8
	v_add_co_ci_u32_e32 v67, vcc_lo, v67, v9, vcc_lo
	v_dual_mov_b32 v68, v64 :: v_dual_mov_b32 v71, v67
	s_delay_alu instid0(VALU_DEP_3)
	v_mov_b32_e32 v70, v66
.LBB4_665:                              ;   Parent Loop BB4_51 Depth=1
                                        ;     Parent Loop BB4_569 Depth=2
                                        ; =>    This Loop Header: Depth=3
                                        ;         Child Loop BB4_666 Depth 4
	global_load_b128 v[8:11], v[70:71], off slc dlc
	global_load_b128 v[144:147], v[68:69], off slc dlc
	s_mov_b64 s[16:17], 0
	s_mov_b32 s15, -1
	s_waitcnt vmcnt(1)
	v_max_f64 v[8:9], v[8:9], v[8:9]
	s_waitcnt vmcnt(0)
	v_max_f64 v[144:145], v[144:145], v[144:145]
	v_max_f64 v[10:11], v[10:11], v[10:11]
	;; [unrolled: 1-line block ×3, first 2 shown]
	s_delay_alu instid0(VALU_DEP_3) | instskip(SKIP_1) | instid1(VALU_DEP_3)
	v_min_f64 v[148:149], v[144:145], v[8:9]
	v_max_f64 v[8:9], v[144:145], v[8:9]
	v_min_f64 v[144:145], v[146:147], v[10:11]
	v_max_f64 v[10:11], v[146:147], v[10:11]
	s_delay_alu instid0(VALU_DEP_3) | instskip(NEXT) | instid1(VALU_DEP_4)
	v_cndmask_b32_e64 v9, v149, v9, s13
	v_cndmask_b32_e64 v8, v148, v8, s13
	s_delay_alu instid0(VALU_DEP_3) | instskip(NEXT) | instid1(VALU_DEP_4)
	v_cndmask_b32_e64 v11, v145, v11, s13
	v_cndmask_b32_e64 v10, v144, v10, s13
.LBB4_666:                              ;   Parent Loop BB4_51 Depth=1
                                        ;     Parent Loop BB4_569 Depth=2
                                        ;       Parent Loop BB4_665 Depth=3
                                        ; =>      This Inner Loop Header: Depth=4
	s_cmp_eq_u32 s16, 0
	v_cndmask_b32_e64 v135, 0, 1, s15
	s_cselect_b32 vcc_lo, -1, 0
	s_cmp_eq_u32 s16, 1
	s_cselect_b32 s15, -1, 0
	s_delay_alu instid0(SALU_CYCLE_1) | instskip(SKIP_1) | instid1(VALU_DEP_2)
	v_cndmask_b32_e64 v144, v64, v66, s15
	v_cndmask_b32_e64 v145, v65, v67, s15
	v_add_co_u32 v146, s16, 0x200, v144
	s_delay_alu instid0(VALU_DEP_1) | instskip(SKIP_1) | instid1(VALU_DEP_3)
	v_add_co_ci_u32_e64 v147, s16, 0, v145, s16
	v_cmp_ne_u32_e64 s16, 1, v135
	v_cndmask_b32_e64 v66, v66, v146, s15
	v_cndmask_b32_e32 v64, v64, v146, vcc_lo
	s_delay_alu instid0(VALU_DEP_4)
	v_cndmask_b32_e64 v67, v67, v147, s15
	v_cndmask_b32_e32 v65, v65, v147, vcc_lo
	s_mov_b32 s15, 0
	s_and_b32 vcc_lo, exec_lo, s16
	s_mov_b64 s[16:17], 1
	global_store_b128 v[144:145], v[8:11], off glc slc dlc
	s_cbranch_vccz .LBB4_666
; %bb.667:                              ;   in Loop: Header=BB4_665 Depth=3
	v_add_co_u32 v68, vcc_lo, v68, v103
	v_add_co_ci_u32_e32 v69, vcc_lo, v69, v112, vcc_lo
	v_add_co_u32 v70, vcc_lo, v70, v103
	v_sub_nc_u32_e32 v53, v53, v87
	v_add_co_ci_u32_e32 v71, vcc_lo, v71, v112, vcc_lo
	v_add_co_u32 v64, vcc_lo, v64, v97
	v_add_co_ci_u32_e32 v65, vcc_lo, v65, v101, vcc_lo
	s_delay_alu instid0(VALU_DEP_4) | instskip(SKIP_1) | instid1(VALU_DEP_1)
	v_cmp_gt_i32_e32 vcc_lo, 16, v53
	v_add_co_u32 v66, s15, v66, v97
	v_add_co_ci_u32_e64 v67, s15, v67, v101, s15
	v_sub_nc_u32_e32 v134, v134, v83
	s_or_b32 s20, vcc_lo, s20
	s_delay_alu instid0(SALU_CYCLE_1)
	s_and_not1_b32 exec_lo, exec_lo, s20
	s_cbranch_execnz .LBB4_665
; %bb.668:                              ;   in Loop: Header=BB4_569 Depth=2
	s_or_b32 exec_lo, exec_lo, s20
.LBB4_669:                              ;   in Loop: Header=BB4_569 Depth=2
	s_delay_alu instid0(SALU_CYCLE_1) | instskip(SKIP_3) | instid1(VALU_DEP_1)
	s_or_b32 exec_lo, exec_lo, s3
	v_and_b32_e32 v9, 8, v2
	s_mov_b32 s3, s31
	s_mov_b32 s15, exec_lo
                                        ; implicit-def: $vgpr68
                                        ; implicit-def: $vgpr69
                                        ; implicit-def: $vgpr8
	v_cndmask_b32_e64 v53, v133, v9, s14
	s_delay_alu instid0(VALU_DEP_1)
	v_cmpx_ne_u32_e32 0, v53
	s_cbranch_execz .LBB4_671
; %bb.670:                              ;   in Loop: Header=BB4_569 Depth=2
	v_cmp_lt_i32_e32 vcc_lo, 0, v134
	v_sub_nc_u32_e32 v9, v133, v9
	s_or_b32 s3, s31, exec_lo
	v_cndmask_b32_e32 v8, 0, v83, vcc_lo
	s_delay_alu instid0(VALU_DEP_2) | instskip(NEXT) | instid1(VALU_DEP_2)
	v_cndmask_b32_e64 v9, 0, v9, s14
	v_sub_nc_u32_e32 v8, v8, v134
	s_delay_alu instid0(VALU_DEP_2) | instskip(NEXT) | instid1(VALU_DEP_2)
	v_add3_u32 v68, v131, v130, v9
	v_lshl_add_u32 v69, v8, 5, v132
	s_delay_alu instid0(VALU_DEP_1) | instskip(NEXT) | instid1(VALU_DEP_1)
	v_ashrrev_i32_e32 v8, 31, v69
	v_lshrrev_b32_e32 v8, 27, v8
	s_delay_alu instid0(VALU_DEP_1) | instskip(NEXT) | instid1(VALU_DEP_1)
	v_add_nc_u32_e32 v8, v69, v8
	v_ashrrev_i32_e32 v8, 5, v8
.LBB4_671:                              ;   in Loop: Header=BB4_569 Depth=2
	s_or_b32 exec_lo, exec_lo, s15
	s_delay_alu instid0(SALU_CYCLE_1) | instskip(SKIP_1) | instid1(SALU_CYCLE_1)
	s_and_not1_b32 s14, s31, exec_lo
	s_and_b32 s3, s3, exec_lo
	s_or_b32 s31, s14, s3
.LBB4_672:                              ;   in Loop: Header=BB4_569 Depth=2
	s_or_b32 exec_lo, exec_lo, s6
	s_branch .LBB4_674
.LBB4_673:                              ;   in Loop: Header=BB4_569 Depth=2
	v_dual_mov_b32 v68, s6 :: v_dual_mov_b32 v53, v2
	v_mov_b32_e32 v69, v0
	v_mov_b32_e32 v8, v84
.LBB4_674:                              ;   in Loop: Header=BB4_569 Depth=2
	s_and_saveexec_b32 s6, s31
	s_cbranch_execz .LBB4_688
; %bb.675:                              ;   in Loop: Header=BB4_569 Depth=2
	v_ashrrev_i32_e32 v9, 31, v53
	s_mov_b32 s3, exec_lo
	s_delay_alu instid0(VALU_DEP_1) | instskip(NEXT) | instid1(VALU_DEP_1)
	v_lshrrev_b32_e32 v9, 23, v9
	v_add_nc_u32_e32 v9, v53, v9
	s_delay_alu instid0(VALU_DEP_1) | instskip(NEXT) | instid1(VALU_DEP_1)
	v_ashrrev_i32_e32 v71, 9, v9
	v_sub_nc_u32_e32 v70, v71, v8
	s_delay_alu instid0(VALU_DEP_1)
	v_cmpx_lt_i32_e32 0, v70
	s_cbranch_execz .LBB4_680
; %bb.676:                              ;   in Loop: Header=BB4_569 Depth=2
	s_cbranch_execnz .LBB4_1768
; %bb.677:                              ;   in Loop: Header=BB4_569 Depth=2
	v_ashrrev_i32_e32 v9, 31, v69
	ds_load_b128 v[64:67], v0
	v_lshlrev_b32_e32 v8, 9, v8
	s_mov_b32 s15, 0
	v_lshrrev_b32_e32 v9, 27, v9
	s_delay_alu instid0(VALU_DEP_1) | instskip(NEXT) | instid1(VALU_DEP_1)
	v_add_nc_u32_e32 v9, v69, v9
	v_and_b32_e32 v9, 0x1fffffe0, v9
	s_delay_alu instid0(VALU_DEP_1) | instskip(NEXT) | instid1(VALU_DEP_1)
	v_sub_nc_u32_e32 v9, v69, v9
	v_lshlrev_b32_e32 v9, 3, v9
	s_delay_alu instid0(VALU_DEP_1) | instskip(NEXT) | instid1(VALU_DEP_1)
	v_add3_u32 v10, v9, v68, v8
	v_ashrrev_i32_e32 v11, 31, v10
	s_waitcnt lgkmcnt(0)
	v_add_co_u32 v8, vcc_lo, v64, v10
	s_delay_alu instid0(VALU_DEP_2) | instskip(SKIP_2) | instid1(VALU_DEP_3)
	v_add_co_ci_u32_e32 v9, vcc_lo, v65, v11, vcc_lo
	v_add_co_u32 v10, vcc_lo, v66, v10
	v_add_co_ci_u32_e32 v11, vcc_lo, v67, v11, vcc_lo
	v_dual_mov_b32 v65, v9 :: v_dual_mov_b32 v64, v8
	s_delay_alu instid0(VALU_DEP_2)
	v_dual_mov_b32 v67, v11 :: v_dual_mov_b32 v66, v10
.LBB4_678:                              ;   Parent Loop BB4_51 Depth=1
                                        ;     Parent Loop BB4_569 Depth=2
                                        ; =>    This Inner Loop Header: Depth=3
	flat_load_b64 v[130:131], v[10:11] slc dlc
	flat_load_b64 v[132:133], v[8:9] slc dlc
	flat_load_b64 v[134:135], v[10:11] offset:256 slc dlc
	flat_load_b64 v[144:145], v[8:9] offset:256 slc dlc
	v_add_co_u32 v8, vcc_lo, v8, v103
	v_sub_nc_u32_e32 v70, v70, v83
	v_add_co_ci_u32_e32 v9, vcc_lo, v9, v112, vcc_lo
	v_add_co_u32 v10, vcc_lo, v10, v103
	v_add_co_ci_u32_e32 v11, vcc_lo, v11, v112, vcc_lo
	s_delay_alu instid0(VALU_DEP_4)
	v_cmp_gt_i32_e32 vcc_lo, 1, v70
	s_or_b32 s15, vcc_lo, s15
	s_waitcnt vmcnt(3) lgkmcnt(3)
	v_max_f64 v[130:131], v[130:131], v[130:131]
	s_waitcnt vmcnt(2) lgkmcnt(2)
	v_max_f64 v[132:133], v[132:133], v[132:133]
	s_waitcnt vmcnt(1) lgkmcnt(1)
	v_max_f64 v[134:135], v[134:135], v[134:135]
	s_waitcnt vmcnt(0) lgkmcnt(0)
	v_max_f64 v[144:145], v[144:145], v[144:145]
	s_delay_alu instid0(VALU_DEP_3) | instskip(SKIP_1) | instid1(VALU_DEP_3)
	v_min_f64 v[146:147], v[132:133], v[130:131]
	v_max_f64 v[130:131], v[132:133], v[130:131]
	v_min_f64 v[132:133], v[144:145], v[134:135]
	v_max_f64 v[134:135], v[144:145], v[134:135]
	s_delay_alu instid0(VALU_DEP_3) | instskip(NEXT) | instid1(VALU_DEP_4)
	v_cndmask_b32_e64 v131, v147, v131, s13
	v_cndmask_b32_e64 v130, v146, v130, s13
	s_delay_alu instid0(VALU_DEP_3) | instskip(NEXT) | instid1(VALU_DEP_4)
	v_cndmask_b32_e64 v133, v133, v135, s13
	v_cndmask_b32_e64 v132, v132, v134, s13
	s_clause 0x1
	flat_store_b64 v[64:65], v[130:131] glc slc dlc
	flat_store_b64 v[64:65], v[132:133] offset:256 glc slc dlc
	s_clause 0x1
	flat_store_b64 v[66:67], v[130:131] glc slc dlc
	flat_store_b64 v[66:67], v[132:133] offset:256 glc slc dlc
	v_add_co_u32 v64, s14, v64, v103
	s_delay_alu instid0(VALU_DEP_1) | instskip(SKIP_1) | instid1(VALU_DEP_1)
	v_add_co_ci_u32_e64 v65, s14, v65, v112, s14
	v_add_co_u32 v66, s14, v66, v103
	v_add_co_ci_u32_e64 v67, s14, v67, v112, s14
	s_and_not1_b32 exec_lo, exec_lo, s15
	s_cbranch_execnz .LBB4_678
; %bb.679:                              ;   in Loop: Header=BB4_569 Depth=2
	s_or_b32 exec_lo, exec_lo, s15
.LBB4_680:                              ;   in Loop: Header=BB4_569 Depth=2
	s_delay_alu instid0(SALU_CYCLE_1) | instskip(SKIP_2) | instid1(VALU_DEP_1)
	s_or_b32 exec_lo, exec_lo, s3
	v_lshlrev_b32_e32 v8, 9, v71
	s_mov_b32 s3, exec_lo
	v_cmpx_ne_u32_e64 v53, v8
	s_cbranch_execz .LBB4_687
; %bb.681:                              ;   in Loop: Header=BB4_569 Depth=2
	v_ashrrev_i32_e32 v9, 31, v69
	v_lshlrev_b32_e32 v10, 5, v70
	s_delay_alu instid0(VALU_DEP_2) | instskip(NEXT) | instid1(VALU_DEP_1)
	v_lshrrev_b32_e32 v9, 27, v9
	v_add_nc_u32_e32 v9, v69, v9
	s_delay_alu instid0(VALU_DEP_1) | instskip(NEXT) | instid1(VALU_DEP_1)
	v_and_b32_e32 v9, 0xffffffe0, v9
	v_sub_nc_u32_e32 v9, v69, v9
	s_delay_alu instid0(VALU_DEP_1) | instskip(NEXT) | instid1(VALU_DEP_1)
	v_sub_nc_u32_e32 v9, v9, v10
	v_ashrrev_i32_e32 v10, 31, v9
	s_delay_alu instid0(VALU_DEP_1) | instskip(NEXT) | instid1(VALU_DEP_1)
	v_lshrrev_b32_e32 v10, 27, v10
	v_add_nc_u32_e32 v10, v9, v10
	s_delay_alu instid0(VALU_DEP_1) | instskip(SKIP_1) | instid1(VALU_DEP_2)
	v_and_b32_e32 v11, 0x1fffffe0, v10
	v_lshlrev_b32_e32 v10, 3, v10
	v_sub_nc_u32_e32 v9, v9, v11
	s_delay_alu instid0(VALU_DEP_2) | instskip(NEXT) | instid1(VALU_DEP_2)
	v_and_b32_e32 v10, 0xffffff00, v10
	v_lshlrev_b32_e32 v9, 3, v9
	s_delay_alu instid0(VALU_DEP_1) | instskip(NEXT) | instid1(VALU_DEP_1)
	v_add3_u32 v8, v10, v9, v8
	v_sub_nc_u32_e32 v53, v53, v8
	s_delay_alu instid0(VALU_DEP_1)
	v_cmp_lt_i32_e32 vcc_lo, 7, v53
	s_and_b32 exec_lo, exec_lo, vcc_lo
	s_cbranch_execz .LBB4_687
; %bb.682:                              ;   in Loop: Header=BB4_569 Depth=2
	s_cbranch_execnz .LBB4_1834
; %bb.683:                              ;   in Loop: Header=BB4_569 Depth=2
	ds_load_b128 v[64:67], v0
	v_add_nc_u32_e32 v10, v8, v68
	s_mov_b32 s16, 0
	s_delay_alu instid0(VALU_DEP_1) | instskip(SKIP_2) | instid1(VALU_DEP_2)
	v_ashrrev_i32_e32 v11, 31, v10
	s_waitcnt lgkmcnt(0)
	v_add_co_u32 v8, vcc_lo, v64, v10
	v_add_co_ci_u32_e32 v9, vcc_lo, v65, v11, vcc_lo
	s_delay_alu instid0(VALU_DEP_1) | instskip(SKIP_2) | instid1(VALU_DEP_1)
	v_mov_b32_e32 v65, v9
	v_add_co_u32 v10, vcc_lo, v66, v10
	v_add_co_ci_u32_e32 v11, vcc_lo, v67, v11, vcc_lo
	v_dual_mov_b32 v64, v8 :: v_dual_mov_b32 v67, v11
	s_delay_alu instid0(VALU_DEP_3)
	v_mov_b32_e32 v66, v10
.LBB4_684:                              ;   Parent Loop BB4_51 Depth=1
                                        ;     Parent Loop BB4_569 Depth=2
                                        ; =>    This Loop Header: Depth=3
                                        ;         Child Loop BB4_685 Depth 4
	flat_load_b64 v[68:69], v[66:67] slc dlc
	flat_load_b64 v[70:71], v[64:65] slc dlc
	s_mov_b64 s[14:15], 0
	s_mov_b32 s17, -1
	s_waitcnt vmcnt(1) lgkmcnt(1)
	v_max_f64 v[68:69], v[68:69], v[68:69]
	s_waitcnt vmcnt(0) lgkmcnt(0)
	v_max_f64 v[70:71], v[70:71], v[70:71]
	s_delay_alu instid0(VALU_DEP_1) | instskip(SKIP_1) | instid1(VALU_DEP_1)
	v_min_f64 v[130:131], v[70:71], v[68:69]
	v_max_f64 v[68:69], v[70:71], v[68:69]
	v_cndmask_b32_e64 v69, v131, v69, s13
	s_delay_alu instid0(VALU_DEP_2)
	v_cndmask_b32_e64 v68, v130, v68, s13
.LBB4_685:                              ;   Parent Loop BB4_51 Depth=1
                                        ;     Parent Loop BB4_569 Depth=2
                                        ;       Parent Loop BB4_684 Depth=3
                                        ; =>      This Inner Loop Header: Depth=4
	s_cmp_eq_u32 s14, 0
	v_cndmask_b32_e64 v130, 0, 1, s17
	s_cselect_b32 vcc_lo, -1, 0
	s_cmp_eq_u32 s14, 1
	s_mov_b32 s17, 0
	s_cselect_b32 s14, -1, 0
	s_delay_alu instid0(SALU_CYCLE_1) | instskip(SKIP_1) | instid1(VALU_DEP_2)
	v_cndmask_b32_e64 v70, v8, v10, s14
	v_cndmask_b32_e64 v71, v9, v11, s14
	v_add_co_u32 v131, s15, 0x100, v70
	s_delay_alu instid0(VALU_DEP_1) | instskip(SKIP_1) | instid1(VALU_DEP_3)
	v_add_co_ci_u32_e64 v132, s15, 0, v71, s15
	v_cmp_ne_u32_e64 s15, 1, v130
	v_cndmask_b32_e64 v10, v10, v131, s14
	v_cndmask_b32_e32 v8, v8, v131, vcc_lo
	s_delay_alu instid0(VALU_DEP_4)
	v_cndmask_b32_e64 v11, v11, v132, s14
	v_cndmask_b32_e32 v9, v9, v132, vcc_lo
	s_and_b32 vcc_lo, exec_lo, s15
	s_mov_b64 s[14:15], 1
	flat_store_b64 v[70:71], v[68:69] glc slc dlc
	s_cbranch_vccz .LBB4_685
; %bb.686:                              ;   in Loop: Header=BB4_684 Depth=3
	v_add_co_u32 v64, vcc_lo, v64, v114
	v_add_co_ci_u32_e32 v65, vcc_lo, v65, v115, vcc_lo
	v_add_co_u32 v66, vcc_lo, v66, v114
	v_sub_nc_u32_e32 v53, v53, v98
	v_add_co_ci_u32_e32 v67, vcc_lo, v67, v115, vcc_lo
	v_add_co_u32 v8, vcc_lo, v8, v102
	v_add_co_ci_u32_e32 v9, vcc_lo, v9, v113, vcc_lo
	s_delay_alu instid0(VALU_DEP_4) | instskip(SKIP_1) | instid1(VALU_DEP_1)
	v_cmp_gt_i32_e32 vcc_lo, 8, v53
	v_add_co_u32 v10, s14, v10, v102
	v_add_co_ci_u32_e64 v11, s14, v11, v113, s14
	s_or_b32 s16, vcc_lo, s16
	s_delay_alu instid0(SALU_CYCLE_1)
	s_and_not1_b32 exec_lo, exec_lo, s16
	s_cbranch_execnz .LBB4_684
.LBB4_687:                              ;   in Loop: Header=BB4_569 Depth=2
	s_or_b32 exec_lo, exec_lo, s3
.LBB4_688:                              ;   in Loop: Header=BB4_569 Depth=2
	s_delay_alu instid0(SALU_CYCLE_1)
	s_or_b32 exec_lo, exec_lo, s6
	s_mov_b32 s3, 0
.LBB4_689:                              ;   in Loop: Header=BB4_569 Depth=2
	s_delay_alu instid0(SALU_CYCLE_1)
	s_and_b32 vcc_lo, exec_lo, s3
	s_cbranch_vccz .LBB4_727
; %bb.690:                              ;   in Loop: Header=BB4_569 Depth=2
	s_mov_b32 s3, -1
	s_and_saveexec_b32 s6, s12
	s_cbranch_execz .LBB4_692
; %bb.691:                              ;   in Loop: Header=BB4_569 Depth=2
	ds_load_b32 v8, v0 offset:720
	s_waitcnt lgkmcnt(0)
	v_and_b32_e32 v8, 15, v8
	s_delay_alu instid0(VALU_DEP_1)
	v_cmp_eq_u32_e32 vcc_lo, 0, v8
	s_or_not1_b32 s3, vcc_lo, exec_lo
.LBB4_692:                              ;   in Loop: Header=BB4_569 Depth=2
	s_or_b32 exec_lo, exec_lo, s6
	s_and_saveexec_b32 s6, s5
	s_cbranch_execz .LBB4_694
; %bb.693:                              ;   in Loop: Header=BB4_569 Depth=2
	ds_load_b32 v8, v0 offset:784
	s_waitcnt lgkmcnt(0)
	v_and_b32_e32 v8, 15, v8
	s_delay_alu instid0(VALU_DEP_1) | instskip(SKIP_3) | instid1(SALU_CYCLE_1)
	v_cmp_eq_u32_e32 vcc_lo, 0, v8
	s_and_b32 s13, s3, vcc_lo
	s_and_not1_b32 s3, s3, exec_lo
	s_and_b32 s13, s13, exec_lo
	s_or_b32 s3, s3, s13
.LBB4_694:                              ;   in Loop: Header=BB4_569 Depth=2
	s_or_b32 exec_lo, exec_lo, s6
	s_xor_b32 s3, s3, -1
	s_delay_alu instid0(SALU_CYCLE_1) | instskip(SKIP_1) | instid1(VALU_DEP_1)
	v_cndmask_b32_e64 v8, 0, 1, s3
	;;#ASMSTART
	;;#ASMEND
	v_cmp_ne_u32_e32 vcc_lo, 0, v8
	s_mov_b32 s3, -1
	s_cbranch_vccz .LBB4_696
; %bb.695:                              ;   in Loop: Header=BB4_569 Depth=2
	s_bitcmp1_b32 s30, 0
	s_mov_b32 s3, 0
	s_mov_b32 s6, -1
	s_mov_b32 s14, 0
	s_cselect_b32 s13, -1, 0
	s_branch .LBB4_697
.LBB4_696:                              ;   in Loop: Header=BB4_569 Depth=2
	s_mov_b32 s6, 0
                                        ; implicit-def: $sgpr14
                                        ; implicit-def: $sgpr13
.LBB4_697:                              ;   in Loop: Header=BB4_569 Depth=2
	s_and_not1_b32 vcc_lo, exec_lo, s3
	s_cbranch_vccnz .LBB4_713
; %bb.698:                              ;   in Loop: Header=BB4_569 Depth=2
	v_ashrrev_i32_e32 v8, 31, v2
	s_bitcmp1_b32 s30, 0
	s_mov_b32 s3, exec_lo
	s_cselect_b32 s13, -1, 0
	s_delay_alu instid0(VALU_DEP_1) | instskip(NEXT) | instid1(VALU_DEP_1)
	v_lshrrev_b32_e32 v8, 22, v8
	v_add_nc_u32_e32 v8, v2, v8
	s_delay_alu instid0(VALU_DEP_1) | instskip(NEXT) | instid1(VALU_DEP_1)
	v_ashrrev_i32_e32 v53, 10, v8
	v_sub_nc_u32_e32 v68, v53, v84
	s_delay_alu instid0(VALU_DEP_1)
	v_cmpx_lt_i32_e32 0, v68
	s_cbranch_execz .LBB4_703
; %bb.699:                              ;   in Loop: Header=BB4_569 Depth=2
	s_cbranch_execnz .LBB4_1776
; %bb.700:                              ;   in Loop: Header=BB4_569 Depth=2
	ds_load_b128 v[8:11], v0
	ds_load_b64 v[64:65], v0
	s_mov_b32 s15, 0
	s_waitcnt lgkmcnt(1)
	v_add_co_u32 v8, vcc_lo, v8, v116
	v_add_co_ci_u32_e32 v9, vcc_lo, v9, v117, vcc_lo
	v_add_co_u32 v10, vcc_lo, v10, v116
	v_add_co_ci_u32_e32 v11, vcc_lo, v11, v117, vcc_lo
	s_waitcnt lgkmcnt(0)
	v_add_co_u32 v64, vcc_lo, v64, v116
	v_add_co_ci_u32_e32 v65, vcc_lo, v65, v117, vcc_lo
.LBB4_701:                              ;   Parent Loop BB4_51 Depth=1
                                        ;     Parent Loop BB4_569 Depth=2
                                        ; =>    This Inner Loop Header: Depth=3
	global_load_b128 v[130:133], v[10:11], off slc dlc
	global_load_b128 v[144:147], v[8:9], off slc dlc
	global_load_b128 v[148:151], v[10:11], off offset:512 slc dlc
	global_load_b128 v[160:163], v[8:9], off offset:512 slc dlc
	v_add_co_u32 v8, vcc_lo, v8, v118
	v_sub_nc_u32_e32 v68, v68, v83
	v_add_co_ci_u32_e32 v9, vcc_lo, v9, v119, vcc_lo
	v_add_co_u32 v10, vcc_lo, v10, v118
	v_add_co_ci_u32_e32 v11, vcc_lo, v11, v119, vcc_lo
	s_delay_alu instid0(VALU_DEP_4)
	v_cmp_gt_i32_e32 vcc_lo, 1, v68
	s_or_b32 s15, vcc_lo, s15
	s_waitcnt vmcnt(3)
	v_max_f64 v[66:67], v[130:131], v[130:131]
	s_waitcnt vmcnt(2)
	v_max_f64 v[69:70], v[144:145], v[144:145]
	v_max_f64 v[130:131], v[132:133], v[132:133]
	;; [unrolled: 1-line block ×3, first 2 shown]
	s_waitcnt vmcnt(1)
	v_max_f64 v[134:135], v[148:149], v[148:149]
	s_waitcnt vmcnt(0)
	v_max_f64 v[144:145], v[160:161], v[160:161]
	v_max_f64 v[146:147], v[150:151], v[150:151]
	;; [unrolled: 1-line block ×3, first 2 shown]
	v_min_f64 v[150:151], v[69:70], v[66:67]
	v_max_f64 v[66:67], v[69:70], v[66:67]
	v_min_f64 v[69:70], v[132:133], v[130:131]
	v_max_f64 v[132:133], v[132:133], v[130:131]
	;; [unrolled: 2-line block ×4, first 2 shown]
	v_cndmask_b32_e64 v131, v151, v67, s13
	v_cndmask_b32_e64 v130, v150, v66, s13
	;; [unrolled: 1-line block ×8, first 2 shown]
	s_clause 0x1
	global_store_b128 v[64:65], v[130:133], off glc slc dlc
	global_store_b128 v[64:65], v[144:147], off offset:512 glc slc dlc
	v_add_co_u32 v64, s14, v64, v118
	s_delay_alu instid0(VALU_DEP_1)
	v_add_co_ci_u32_e64 v65, s14, v65, v119, s14
	s_and_not1_b32 exec_lo, exec_lo, s15
	s_cbranch_execnz .LBB4_701
; %bb.702:                              ;   in Loop: Header=BB4_569 Depth=2
	s_or_b32 exec_lo, exec_lo, s15
.LBB4_703:                              ;   in Loop: Header=BB4_569 Depth=2
	s_delay_alu instid0(SALU_CYCLE_1) | instskip(SKIP_2) | instid1(VALU_DEP_1)
	s_or_b32 exec_lo, exec_lo, s3
	v_lshlrev_b32_e32 v67, 10, v53
	s_mov_b32 s16, exec_lo
                                        ; implicit-def: $vgpr53
                                        ; implicit-def: $vgpr66
                                        ; implicit-def: $vgpr8
	v_cmpx_ne_u32_e64 v2, v67
	s_cbranch_execz .LBB4_712
; %bb.704:                              ;   in Loop: Header=BB4_569 Depth=2
	v_lshlrev_b32_e32 v8, 5, v68
	v_sub_nc_u32_e32 v10, v2, v67
	s_mov_b32 s3, exec_lo
	s_delay_alu instid0(VALU_DEP_2) | instskip(NEXT) | instid1(VALU_DEP_2)
	v_sub_nc_u32_e32 v8, v85, v8
	v_ashrrev_i32_e32 v11, 31, v10
	s_delay_alu instid0(VALU_DEP_2) | instskip(NEXT) | instid1(VALU_DEP_2)
	v_ashrrev_i32_e32 v9, 31, v8
	v_lshrrev_b32_e32 v11, 23, v11
	s_delay_alu instid0(VALU_DEP_2) | instskip(NEXT) | instid1(VALU_DEP_2)
	v_lshrrev_b32_e32 v9, 27, v9
	v_add_nc_u32_e32 v11, v10, v11
	s_delay_alu instid0(VALU_DEP_2) | instskip(NEXT) | instid1(VALU_DEP_2)
	v_add_nc_u32_e32 v9, v8, v9
	v_and_b32_e32 v68, 0xfffffe00, v11
	v_ashrrev_i32_e32 v11, 9, v11
	s_delay_alu instid0(VALU_DEP_3) | instskip(NEXT) | instid1(VALU_DEP_3)
	v_and_b32_e32 v53, 0xffffffe0, v9
	v_sub_nc_u32_e32 v70, v10, v68
	v_ashrrev_i32_e32 v9, 5, v9
	s_delay_alu instid0(VALU_DEP_3) | instskip(NEXT) | instid1(VALU_DEP_3)
	v_sub_nc_u32_e32 v69, v8, v53
	v_cmp_lt_i32_e32 vcc_lo, 15, v70
	s_delay_alu instid0(VALU_DEP_2) | instskip(SKIP_1) | instid1(VALU_DEP_2)
	v_lshlrev_b32_e32 v8, 4, v69
	v_add_co_ci_u32_e64 v11, s14, 0, v11, vcc_lo
	v_lshl_add_u32 v8, v9, 9, v8
	s_delay_alu instid0(VALU_DEP_2) | instskip(NEXT) | instid1(VALU_DEP_2)
	v_sub_nc_u32_e32 v71, v11, v9
	v_sub_nc_u32_e32 v53, v10, v8
	s_delay_alu instid0(VALU_DEP_1)
	v_cmpx_lt_i32_e32 15, v53
	s_cbranch_execz .LBB4_709
; %bb.705:                              ;   in Loop: Header=BB4_569 Depth=2
	s_cbranch_execnz .LBB4_1848
; %bb.706:                              ;   in Loop: Header=BB4_569 Depth=2
	ds_load_b128 v[130:133], v0
	ds_load_b64 v[64:65], v0
	v_add_nc_u32_e32 v66, v8, v67
	s_mov_b32 s17, 0
	s_delay_alu instid0(VALU_DEP_1) | instskip(SKIP_2) | instid1(VALU_DEP_1)
	v_ashrrev_i32_e32 v134, 31, v66
	s_waitcnt lgkmcnt(1)
	v_add_co_u32 v8, s14, v130, v66
	v_add_co_ci_u32_e64 v9, s14, v131, v134, s14
	v_add_co_u32 v10, s14, v132, v66
	s_delay_alu instid0(VALU_DEP_1) | instskip(SKIP_2) | instid1(VALU_DEP_1)
	v_add_co_ci_u32_e64 v11, s14, v133, v134, s14
	s_waitcnt lgkmcnt(0)
	v_add_co_u32 v64, s14, v64, v66
	v_add_co_ci_u32_e64 v65, s14, v65, v134, s14
.LBB4_707:                              ;   Parent Loop BB4_51 Depth=1
                                        ;     Parent Loop BB4_569 Depth=2
                                        ; =>    This Inner Loop Header: Depth=3
	global_load_b128 v[130:133], v[10:11], off slc dlc
	global_load_b128 v[144:147], v[8:9], off slc dlc
	v_add_co_u32 v8, s14, v8, v103
	v_sub_nc_u32_e32 v53, v53, v87
	v_add_co_ci_u32_e64 v9, s14, v9, v112, s14
	v_add_co_u32 v10, s14, v10, v103
	s_delay_alu instid0(VALU_DEP_1) | instskip(NEXT) | instid1(VALU_DEP_4)
	v_add_co_ci_u32_e64 v11, s14, v11, v112, s14
	v_cmp_gt_i32_e64 s14, 16, v53
	v_sub_nc_u32_e32 v71, v71, v83
	s_delay_alu instid0(VALU_DEP_2)
	s_or_b32 s17, s14, s17
	s_waitcnt vmcnt(1)
	v_max_f64 v[130:131], v[130:131], v[130:131]
	s_waitcnt vmcnt(0)
	v_max_f64 v[134:135], v[144:145], v[144:145]
	v_max_f64 v[132:133], v[132:133], v[132:133]
	;; [unrolled: 1-line block ×3, first 2 shown]
	s_delay_alu instid0(VALU_DEP_3) | instskip(SKIP_1) | instid1(VALU_DEP_3)
	v_min_f64 v[146:147], v[134:135], v[130:131]
	v_max_f64 v[130:131], v[134:135], v[130:131]
	v_min_f64 v[134:135], v[144:145], v[132:133]
	v_max_f64 v[132:133], v[144:145], v[132:133]
	s_delay_alu instid0(VALU_DEP_3) | instskip(NEXT) | instid1(VALU_DEP_4)
	v_cndmask_b32_e64 v131, v147, v131, s13
	v_cndmask_b32_e64 v130, v146, v130, s13
	s_delay_alu instid0(VALU_DEP_3) | instskip(NEXT) | instid1(VALU_DEP_4)
	v_cndmask_b32_e64 v133, v135, v133, s13
	v_cndmask_b32_e64 v132, v134, v132, s13
	global_store_b128 v[64:65], v[130:133], off glc slc dlc
	v_add_co_u32 v64, s15, v64, v103
	s_delay_alu instid0(VALU_DEP_1)
	v_add_co_ci_u32_e64 v65, s15, v65, v112, s15
	s_and_not1_b32 exec_lo, exec_lo, s17
	s_cbranch_execnz .LBB4_707
; %bb.708:                              ;   in Loop: Header=BB4_569 Depth=2
	s_or_b32 exec_lo, exec_lo, s17
.LBB4_709:                              ;   in Loop: Header=BB4_569 Depth=2
	s_delay_alu instid0(SALU_CYCLE_1) | instskip(SKIP_3) | instid1(VALU_DEP_1)
	s_or_b32 exec_lo, exec_lo, s3
	v_and_b32_e32 v9, 8, v2
	s_mov_b32 s3, s6
	s_mov_b32 s15, exec_lo
                                        ; implicit-def: $vgpr53
                                        ; implicit-def: $vgpr66
                                        ; implicit-def: $vgpr8
	v_cndmask_b32_e32 v2, v70, v9, vcc_lo
	s_delay_alu instid0(VALU_DEP_1)
	v_cmpx_ne_u32_e32 0, v2
; %bb.710:                              ;   in Loop: Header=BB4_569 Depth=2
	v_cmp_lt_i32_e64 s14, 0, v71
	v_sub_nc_u32_e32 v9, v70, v9
	s_or_b32 s3, s6, exec_lo
	s_delay_alu instid0(VALU_DEP_2) | instskip(NEXT) | instid1(VALU_DEP_1)
	v_cndmask_b32_e64 v8, 0, v83, s14
	v_sub_nc_u32_e32 v8, v8, v71
	s_delay_alu instid0(VALU_DEP_1) | instskip(NEXT) | instid1(VALU_DEP_1)
	v_lshl_add_u32 v66, v8, 5, v69
	v_ashrrev_i32_e32 v8, 31, v66
	s_delay_alu instid0(VALU_DEP_1) | instskip(NEXT) | instid1(VALU_DEP_1)
	v_lshrrev_b32_e32 v8, 27, v8
	v_dual_cndmask_b32 v9, 0, v9 :: v_dual_add_nc_u32 v8, v66, v8
	s_delay_alu instid0(VALU_DEP_1) | instskip(NEXT) | instid1(VALU_DEP_2)
	v_add3_u32 v53, v68, v67, v9
	v_ashrrev_i32_e32 v8, 5, v8
; %bb.711:                              ;   in Loop: Header=BB4_569 Depth=2
	s_or_b32 exec_lo, exec_lo, s15
	s_delay_alu instid0(SALU_CYCLE_1) | instskip(SKIP_1) | instid1(SALU_CYCLE_1)
	s_and_not1_b32 s6, s6, exec_lo
	s_and_b32 s3, s3, exec_lo
	s_or_b32 s6, s6, s3
.LBB4_712:                              ;   in Loop: Header=BB4_569 Depth=2
	s_or_b32 exec_lo, exec_lo, s16
	s_branch .LBB4_714
.LBB4_713:                              ;   in Loop: Header=BB4_569 Depth=2
	v_dual_mov_b32 v53, s14 :: v_dual_mov_b32 v66, v0
	v_mov_b32_e32 v8, v84
.LBB4_714:                              ;   in Loop: Header=BB4_569 Depth=2
	s_and_saveexec_b32 s15, s6
	s_cbranch_execz .LBB4_726
; %bb.715:                              ;   in Loop: Header=BB4_569 Depth=2
	v_ashrrev_i32_e32 v9, 31, v2
	s_mov_b32 s3, exec_lo
	s_delay_alu instid0(VALU_DEP_1) | instskip(NEXT) | instid1(VALU_DEP_1)
	v_lshrrev_b32_e32 v9, 23, v9
	v_add_nc_u32_e32 v9, v2, v9
	s_delay_alu instid0(VALU_DEP_1) | instskip(NEXT) | instid1(VALU_DEP_1)
	v_ashrrev_i32_e32 v68, 9, v9
	v_sub_nc_u32_e32 v67, v68, v8
	s_delay_alu instid0(VALU_DEP_1)
	v_cmpx_lt_i32_e32 0, v67
	s_cbranch_execz .LBB4_720
; %bb.716:                              ;   in Loop: Header=BB4_569 Depth=2
	s_cbranch_execnz .LBB4_1790
; %bb.717:                              ;   in Loop: Header=BB4_569 Depth=2
	v_ashrrev_i32_e32 v9, 31, v66
	ds_load_b128 v[130:133], v0
	ds_load_b64 v[64:65], v0
	v_lshlrev_b32_e32 v8, 9, v8
	s_mov_b32 s6, 0
	v_lshrrev_b32_e32 v9, 27, v9
	s_delay_alu instid0(VALU_DEP_1) | instskip(NEXT) | instid1(VALU_DEP_1)
	v_add_nc_u32_e32 v9, v66, v9
	v_and_b32_e32 v9, 0x1fffffe0, v9
	s_delay_alu instid0(VALU_DEP_1) | instskip(NEXT) | instid1(VALU_DEP_1)
	v_sub_nc_u32_e32 v9, v66, v9
	v_lshlrev_b32_e32 v9, 3, v9
	s_delay_alu instid0(VALU_DEP_1) | instskip(NEXT) | instid1(VALU_DEP_1)
	v_add3_u32 v69, v9, v53, v8
	v_ashrrev_i32_e32 v70, 31, v69
	s_waitcnt lgkmcnt(1)
	v_add_co_u32 v8, vcc_lo, v130, v69
	s_delay_alu instid0(VALU_DEP_2)
	v_add_co_ci_u32_e32 v9, vcc_lo, v131, v70, vcc_lo
	v_add_co_u32 v10, vcc_lo, v132, v69
	v_add_co_ci_u32_e32 v11, vcc_lo, v133, v70, vcc_lo
	s_waitcnt lgkmcnt(0)
	v_add_co_u32 v64, vcc_lo, v64, v69
	v_add_co_ci_u32_e32 v65, vcc_lo, v65, v70, vcc_lo
.LBB4_718:                              ;   Parent Loop BB4_51 Depth=1
                                        ;     Parent Loop BB4_569 Depth=2
                                        ; =>    This Inner Loop Header: Depth=3
	flat_load_b64 v[69:70], v[10:11] slc dlc
	flat_load_b64 v[130:131], v[8:9] slc dlc
	flat_load_b64 v[132:133], v[10:11] offset:256 slc dlc
	flat_load_b64 v[134:135], v[8:9] offset:256 slc dlc
	v_add_co_u32 v8, vcc_lo, v8, v103
	v_sub_nc_u32_e32 v67, v67, v83
	v_add_co_ci_u32_e32 v9, vcc_lo, v9, v112, vcc_lo
	v_add_co_u32 v10, vcc_lo, v10, v103
	v_add_co_ci_u32_e32 v11, vcc_lo, v11, v112, vcc_lo
	s_delay_alu instid0(VALU_DEP_4)
	v_cmp_gt_i32_e32 vcc_lo, 1, v67
	s_or_b32 s6, vcc_lo, s6
	s_waitcnt vmcnt(3) lgkmcnt(3)
	v_max_f64 v[69:70], v[69:70], v[69:70]
	s_waitcnt vmcnt(2) lgkmcnt(2)
	v_max_f64 v[130:131], v[130:131], v[130:131]
	;; [unrolled: 2-line block ×4, first 2 shown]
	s_delay_alu instid0(VALU_DEP_3) | instskip(SKIP_1) | instid1(VALU_DEP_3)
	v_min_f64 v[144:145], v[130:131], v[69:70]
	v_max_f64 v[69:70], v[130:131], v[69:70]
	v_min_f64 v[130:131], v[134:135], v[132:133]
	v_max_f64 v[132:133], v[134:135], v[132:133]
	s_delay_alu instid0(VALU_DEP_3) | instskip(NEXT) | instid1(VALU_DEP_4)
	v_cndmask_b32_e64 v70, v145, v70, s13
	v_cndmask_b32_e64 v69, v144, v69, s13
	s_delay_alu instid0(VALU_DEP_3) | instskip(NEXT) | instid1(VALU_DEP_4)
	v_cndmask_b32_e64 v131, v131, v133, s13
	v_cndmask_b32_e64 v130, v130, v132, s13
	s_clause 0x1
	flat_store_b64 v[64:65], v[69:70] glc slc dlc
	flat_store_b64 v[64:65], v[130:131] offset:256 glc slc dlc
	v_add_co_u32 v64, s14, v64, v103
	s_delay_alu instid0(VALU_DEP_1)
	v_add_co_ci_u32_e64 v65, s14, v65, v112, s14
	s_and_not1_b32 exec_lo, exec_lo, s6
	s_cbranch_execnz .LBB4_718
; %bb.719:                              ;   in Loop: Header=BB4_569 Depth=2
	s_or_b32 exec_lo, exec_lo, s6
.LBB4_720:                              ;   in Loop: Header=BB4_569 Depth=2
	s_delay_alu instid0(SALU_CYCLE_1) | instskip(SKIP_2) | instid1(VALU_DEP_1)
	s_or_b32 exec_lo, exec_lo, s3
	v_lshlrev_b32_e32 v8, 9, v68
	s_mov_b32 s3, exec_lo
	v_cmpx_ne_u32_e64 v2, v8
	s_cbranch_execz .LBB4_725
; %bb.721:                              ;   in Loop: Header=BB4_569 Depth=2
	v_ashrrev_i32_e32 v9, 31, v66
	v_lshlrev_b32_e32 v10, 5, v67
	s_delay_alu instid0(VALU_DEP_2) | instskip(NEXT) | instid1(VALU_DEP_1)
	v_lshrrev_b32_e32 v9, 27, v9
	v_add_nc_u32_e32 v9, v66, v9
	s_delay_alu instid0(VALU_DEP_1) | instskip(NEXT) | instid1(VALU_DEP_1)
	v_and_b32_e32 v9, 0xffffffe0, v9
	v_sub_nc_u32_e32 v9, v66, v9
	s_delay_alu instid0(VALU_DEP_1) | instskip(NEXT) | instid1(VALU_DEP_1)
	v_sub_nc_u32_e32 v9, v9, v10
	v_ashrrev_i32_e32 v10, 31, v9
	s_delay_alu instid0(VALU_DEP_1) | instskip(NEXT) | instid1(VALU_DEP_1)
	v_lshrrev_b32_e32 v10, 27, v10
	v_add_nc_u32_e32 v10, v9, v10
	s_delay_alu instid0(VALU_DEP_1) | instskip(SKIP_1) | instid1(VALU_DEP_2)
	v_and_b32_e32 v11, 0x1fffffe0, v10
	v_lshlrev_b32_e32 v10, 3, v10
	v_sub_nc_u32_e32 v9, v9, v11
	s_delay_alu instid0(VALU_DEP_2) | instskip(NEXT) | instid1(VALU_DEP_2)
	v_and_b32_e32 v10, 0xffffff00, v10
	v_lshlrev_b32_e32 v9, 3, v9
	s_delay_alu instid0(VALU_DEP_1) | instskip(NEXT) | instid1(VALU_DEP_1)
	v_add3_u32 v8, v10, v9, v8
	v_sub_nc_u32_e32 v2, v2, v8
	s_delay_alu instid0(VALU_DEP_1)
	v_cmp_lt_i32_e32 vcc_lo, 7, v2
	s_and_b32 exec_lo, exec_lo, vcc_lo
	s_cbranch_execz .LBB4_725
; %bb.722:                              ;   in Loop: Header=BB4_569 Depth=2
	s_cbranch_execnz .LBB4_1856
; %bb.723:                              ;   in Loop: Header=BB4_569 Depth=2
	ds_load_b128 v[64:67], v0
	ds_load_b64 v[68:69], v0
	v_add_nc_u32_e32 v53, v8, v53
	s_mov_b32 s6, 0
	s_delay_alu instid0(VALU_DEP_1) | instskip(SKIP_2) | instid1(VALU_DEP_2)
	v_ashrrev_i32_e32 v70, 31, v53
	s_waitcnt lgkmcnt(1)
	v_add_co_u32 v8, vcc_lo, v64, v53
	v_add_co_ci_u32_e32 v9, vcc_lo, v65, v70, vcc_lo
	v_add_co_u32 v10, vcc_lo, v66, v53
	v_add_co_ci_u32_e32 v11, vcc_lo, v67, v70, vcc_lo
	s_waitcnt lgkmcnt(0)
	v_add_co_u32 v64, vcc_lo, v68, v53
	v_add_co_ci_u32_e32 v65, vcc_lo, v69, v70, vcc_lo
	s_set_inst_prefetch_distance 0x1
.LBB4_724:                              ;   Parent Loop BB4_51 Depth=1
                                        ;     Parent Loop BB4_569 Depth=2
                                        ; =>    This Inner Loop Header: Depth=3
	flat_load_b64 v[66:67], v[10:11] slc dlc
	flat_load_b64 v[68:69], v[8:9] slc dlc
	v_add_co_u32 v8, vcc_lo, v8, v114
	v_sub_nc_u32_e32 v2, v2, v98
	v_add_co_ci_u32_e32 v9, vcc_lo, v9, v115, vcc_lo
	v_add_co_u32 v10, vcc_lo, v10, v114
	v_add_co_ci_u32_e32 v11, vcc_lo, v11, v115, vcc_lo
	s_delay_alu instid0(VALU_DEP_4)
	v_cmp_gt_i32_e32 vcc_lo, 8, v2
	s_or_b32 s6, vcc_lo, s6
	s_waitcnt vmcnt(1) lgkmcnt(1)
	v_max_f64 v[66:67], v[66:67], v[66:67]
	s_waitcnt vmcnt(0) lgkmcnt(0)
	v_max_f64 v[68:69], v[68:69], v[68:69]
	s_delay_alu instid0(VALU_DEP_1) | instskip(SKIP_1) | instid1(VALU_DEP_1)
	v_min_f64 v[70:71], v[68:69], v[66:67]
	v_max_f64 v[66:67], v[68:69], v[66:67]
	v_cndmask_b32_e64 v67, v71, v67, s13
	s_delay_alu instid0(VALU_DEP_2) | instskip(SKIP_2) | instid1(VALU_DEP_1)
	v_cndmask_b32_e64 v66, v70, v66, s13
	flat_store_b64 v[64:65], v[66:67] glc slc dlc
	v_add_co_u32 v64, s14, v64, v114
	v_add_co_ci_u32_e64 v65, s14, v65, v115, s14
	s_and_not1_b32 exec_lo, exec_lo, s6
	s_cbranch_execnz .LBB4_724
.LBB4_725:                              ;   in Loop: Header=BB4_569 Depth=2
	s_set_inst_prefetch_distance 0x2
	s_or_b32 exec_lo, exec_lo, s3
.LBB4_726:                              ;   in Loop: Header=BB4_569 Depth=2
	s_delay_alu instid0(SALU_CYCLE_1)
	s_or_b32 exec_lo, exec_lo, s15
.LBB4_727:                              ;   in Loop: Header=BB4_569 Depth=2
	s_and_saveexec_b32 s6, vcc_hi
	s_cbranch_execz .LBB4_749
; %bb.728:                              ;   in Loop: Header=BB4_569 Depth=2
	s_and_saveexec_b32 s3, s4
	s_delay_alu instid0(SALU_CYCLE_1)
	s_xor_b32 s3, exec_lo, s3
	s_cbranch_execz .LBB4_746
; %bb.729:                              ;   in Loop: Header=BB4_569 Depth=2
	s_and_saveexec_b32 s13, s1
	s_cbranch_execz .LBB4_745
; %bb.730:                              ;   in Loop: Header=BB4_569 Depth=2
	s_mov_b32 s15, exec_lo
	s_mov_b32 s14, exec_lo
	v_mbcnt_lo_u32_b32 v2, s15, 0
	s_waitcnt lgkmcnt(0)
	s_waitcnt_vscnt null, 0x0
	buffer_gl1_inv
	buffer_gl0_inv
	v_cmpx_eq_u32_e32 0, v2
	s_cbranch_execz .LBB4_732
; %bb.731:                              ;   in Loop: Header=BB4_569 Depth=2
	s_bcnt1_i32_b32 s15, s15
	s_delay_alu instid0(SALU_CYCLE_1)
	v_mov_b32_e32 v2, s15
	ds_add_u64 v0, v[2:3]
	s_cbranch_execnz .LBB4_1754
.LBB4_732:                              ;   in Loop: Header=BB4_569 Depth=2
	s_or_b32 exec_lo, exec_lo, s14
	s_cbranch_execnz .LBB4_1728
; %bb.733:                              ;   in Loop: Header=BB4_569 Depth=2
	ds_load_b64 v[8:9], v0
	v_add_co_u32 v12, vcc_lo, v12, v83
	v_add_co_ci_u32_e32 v13, vcc_lo, 0, v13, vcc_lo
	s_mov_b32 s14, exec_lo
	s_waitcnt lgkmcnt(0)
	s_delay_alu instid0(VALU_DEP_1)
	v_cmpx_lt_u64_e64 v[8:9], v[12:13]
	s_cbranch_execz .LBB4_744
; %bb.734:                              ;   in Loop: Header=BB4_569 Depth=2
	s_mov_b32 s15, 0
	s_mov_b32 s20, 0
                                        ; implicit-def: $sgpr16
                                        ; implicit-def: $sgpr17
	s_branch .LBB4_736
.LBB4_735:                              ;   in Loop: Header=BB4_736 Depth=3
	s_or_b32 exec_lo, exec_lo, s30
	s_delay_alu instid0(SALU_CYCLE_1) | instskip(NEXT) | instid1(SALU_CYCLE_1)
	s_and_b32 s28, exec_lo, vcc_lo
	s_or_b32 s15, s28, s15
	s_and_not1_b32 s16, s16, exec_lo
	s_and_b32 s28, s17, exec_lo
	s_delay_alu instid0(SALU_CYCLE_1)
	s_or_b32 s16, s16, s28
	s_and_not1_b32 exec_lo, exec_lo, s15
	s_cbranch_execz .LBB4_742
.LBB4_736:                              ;   Parent Loop BB4_51 Depth=1
                                        ;     Parent Loop BB4_569 Depth=2
                                        ; =>    This Inner Loop Header: Depth=3
	s_add_i32 s20, s20, 1
                                        ; implicit-def: $sgpr30
	s_delay_alu instid0(SALU_CYCLE_1) | instskip(SKIP_1) | instid1(SALU_CYCLE_1)
	s_cmpk_lg_i32 s20, 0x2710
	s_cselect_b32 s28, -1, 0
	s_and_b32 vcc_lo, exec_lo, s28
	s_cbranch_vccz .LBB4_740
.LBB4_737:                              ;   in Loop: Header=BB4_736 Depth=3
	s_and_not1_b32 s17, s17, exec_lo
	s_and_b32 s30, s30, exec_lo
	s_mov_b32 vcc_lo, -1
	s_or_b32 s17, s17, s30
	s_and_saveexec_b32 s30, s28
	s_cbranch_execz .LBB4_735
; %bb.738:                              ;   in Loop: Header=BB4_736 Depth=3
	s_sleep 1
	s_cbranch_execnz .LBB4_1810
; %bb.739:                              ;   in Loop: Header=BB4_736 Depth=3
	ds_load_b64 v[8:9], v0
	s_and_not1_b32 s17, s17, exec_lo
	s_waitcnt lgkmcnt(0)
	v_cmp_ge_u64_e32 vcc_lo, v[8:9], v[12:13]
	s_or_not1_b32 vcc_lo, vcc_lo, exec_lo
	s_branch .LBB4_735
.LBB4_740:                              ;   in Loop: Header=BB4_736 Depth=3
	s_cbranch_execnz .LBB4_1830
; %bb.741:                              ;   in Loop: Header=BB4_736 Depth=3
	ds_load_b64 v[8:9], v0
	s_and_not1_b32 s28, s28, exec_lo
	s_mov_b32 s20, 0
	s_mov_b32 s30, -1
	s_waitcnt lgkmcnt(0)
	flat_load_b32 v2, v[8:9] glc
	s_waitcnt vmcnt(0) lgkmcnt(0)
	buffer_gl1_inv
	buffer_gl0_inv
	v_cmp_eq_u32_e32 vcc_lo, 0, v2
	s_and_b32 vcc_lo, vcc_lo, exec_lo
	s_delay_alu instid0(SALU_CYCLE_1)
	s_or_b32 s28, s28, vcc_lo
	s_branch .LBB4_737
.LBB4_742:                              ;   in Loop: Header=BB4_569 Depth=2
	s_or_b32 exec_lo, exec_lo, s15
	s_and_saveexec_b32 s15, s16
	s_delay_alu instid0(SALU_CYCLE_1)
	s_xor_b32 s15, exec_lo, s15
	s_cbranch_execz .LBB4_744
; %bb.743:                              ;   in Loop: Header=BB4_569 Depth=2
	ds_store_b32 v0, v128
	s_cbranch_execnz .LBB4_1934
.LBB4_744:                              ;   in Loop: Header=BB4_569 Depth=2
	s_or_b32 exec_lo, exec_lo, s14
	;;#ASMSTART
	s_wakeup
	;;#ASMEND
.LBB4_745:                              ;   in Loop: Header=BB4_569 Depth=2
	s_or_b32 exec_lo, exec_lo, s13
.LBB4_746:                              ;   in Loop: Header=BB4_569 Depth=2
	s_and_not1_saveexec_b32 s3, s3
	s_cbranch_execz .LBB4_748
; %bb.747:                              ;   in Loop: Header=BB4_569 Depth=2
	s_waitcnt lgkmcnt(0)
	s_waitcnt_vscnt null, 0x0
	buffer_gl1_inv
	buffer_gl0_inv
	s_barrier
.LBB4_748:                              ;   in Loop: Header=BB4_569 Depth=2
	s_or_b32 exec_lo, exec_lo, s3
.LBB4_749:                              ;   in Loop: Header=BB4_569 Depth=2
	s_delay_alu instid0(SALU_CYCLE_1) | instskip(SKIP_1) | instid1(SALU_CYCLE_1)
	s_or_b32 exec_lo, exec_lo, s6
                                        ; implicit-def: $vgpr2
	s_and_saveexec_b32 s3, s7
	s_xor_b32 s3, exec_lo, s3
	s_cbranch_execz .LBB4_753
; %bb.750:                              ;   in Loop: Header=BB4_569 Depth=2
	v_and_b32_e32 v2, 16, v30
	v_cmp_lt_i32_e32 vcc_lo, 0, v51
	s_delay_alu instid0(VALU_DEP_2) | instskip(SKIP_1) | instid1(VALU_DEP_2)
	v_cmp_ne_u32_e64 s13, 0, v2
	v_and_b32_e32 v2, 16, v30
	s_and_b32 s13, s13, vcc_lo
	s_delay_alu instid0(SALU_CYCLE_1)
	s_and_saveexec_b32 s6, s13
	s_cbranch_execz .LBB4_752
; %bb.751:                              ;   in Loop: Header=BB4_569 Depth=2
	v_mov_b32_e32 v2, 1
	s_waitcnt lgkmcnt(0)
	s_waitcnt_vscnt null, 0x0
	buffer_gl1_inv
	buffer_gl0_inv
.LBB4_752:                              ;   in Loop: Header=BB4_569 Depth=2
	s_or_b32 exec_lo, exec_lo, s6
.LBB4_753:                              ;   in Loop: Header=BB4_569 Depth=2
	s_and_not1_saveexec_b32 s6, s3
	s_cbranch_execz .LBB4_775
; %bb.754:                              ;   in Loop: Header=BB4_569 Depth=2
	s_and_saveexec_b32 s3, s4
	s_delay_alu instid0(SALU_CYCLE_1)
	s_xor_b32 s3, exec_lo, s3
	s_cbranch_execz .LBB4_772
; %bb.755:                              ;   in Loop: Header=BB4_569 Depth=2
	s_and_saveexec_b32 s13, s1
	s_cbranch_execz .LBB4_771
; %bb.756:                              ;   in Loop: Header=BB4_569 Depth=2
	s_mov_b32 s15, exec_lo
	s_mov_b32 s14, exec_lo
	v_mbcnt_lo_u32_b32 v2, s15, 0
	;;#ASMSTART
	s_waitcnt lgkmcnt(0) vmcnt(0)
	;;#ASMEND
	s_delay_alu instid0(VALU_DEP_1)
	v_cmpx_eq_u32_e32 0, v2
	s_cbranch_execz .LBB4_758
; %bb.757:                              ;   in Loop: Header=BB4_569 Depth=2
	s_bcnt1_i32_b32 s15, s15
	s_delay_alu instid0(SALU_CYCLE_1)
	v_mov_b32_e32 v2, s15
	ds_add_u64 v0, v[2:3]
	s_cbranch_execnz .LBB4_1758
.LBB4_758:                              ;   in Loop: Header=BB4_569 Depth=2
	s_or_b32 exec_lo, exec_lo, s14
	s_cbranch_execnz .LBB4_1732
; %bb.759:                              ;   in Loop: Header=BB4_569 Depth=2
	ds_load_b64 v[8:9], v0
	v_add_co_u32 v12, vcc_lo, v12, v83
	v_add_co_ci_u32_e32 v13, vcc_lo, 0, v13, vcc_lo
	s_mov_b32 s14, exec_lo
	s_waitcnt lgkmcnt(0)
	s_delay_alu instid0(VALU_DEP_1)
	v_cmpx_lt_u64_e64 v[8:9], v[12:13]
	s_cbranch_execz .LBB4_770
; %bb.760:                              ;   in Loop: Header=BB4_569 Depth=2
	s_mov_b32 s15, 0
	s_mov_b32 s20, 0
                                        ; implicit-def: $sgpr16
                                        ; implicit-def: $sgpr17
	s_branch .LBB4_762
.LBB4_761:                              ;   in Loop: Header=BB4_762 Depth=3
	s_or_b32 exec_lo, exec_lo, s30
	s_delay_alu instid0(SALU_CYCLE_1) | instskip(NEXT) | instid1(SALU_CYCLE_1)
	s_and_b32 s28, exec_lo, vcc_lo
	s_or_b32 s15, s28, s15
	s_and_not1_b32 s16, s16, exec_lo
	s_and_b32 s28, s17, exec_lo
	s_delay_alu instid0(SALU_CYCLE_1)
	s_or_b32 s16, s16, s28
	s_and_not1_b32 exec_lo, exec_lo, s15
	s_cbranch_execz .LBB4_768
.LBB4_762:                              ;   Parent Loop BB4_51 Depth=1
                                        ;     Parent Loop BB4_569 Depth=2
                                        ; =>    This Inner Loop Header: Depth=3
	s_add_i32 s20, s20, 1
                                        ; implicit-def: $sgpr30
	s_delay_alu instid0(SALU_CYCLE_1) | instskip(SKIP_1) | instid1(SALU_CYCLE_1)
	s_cmpk_lg_i32 s20, 0x2710
	s_cselect_b32 s28, -1, 0
	s_and_b32 vcc_lo, exec_lo, s28
	s_cbranch_vccz .LBB4_766
.LBB4_763:                              ;   in Loop: Header=BB4_762 Depth=3
	s_and_not1_b32 s17, s17, exec_lo
	s_and_b32 s30, s30, exec_lo
	s_mov_b32 vcc_lo, -1
	s_or_b32 s17, s17, s30
	s_and_saveexec_b32 s30, s28
	s_cbranch_execz .LBB4_761
; %bb.764:                              ;   in Loop: Header=BB4_762 Depth=3
	s_sleep 1
	s_cbranch_execnz .LBB4_1818
; %bb.765:                              ;   in Loop: Header=BB4_762 Depth=3
	ds_load_b64 v[8:9], v0
	s_and_not1_b32 s17, s17, exec_lo
	s_waitcnt lgkmcnt(0)
	v_cmp_ge_u64_e32 vcc_lo, v[8:9], v[12:13]
	s_or_not1_b32 vcc_lo, vcc_lo, exec_lo
	s_branch .LBB4_761
.LBB4_766:                              ;   in Loop: Header=BB4_762 Depth=3
	s_cbranch_execnz .LBB4_1836
; %bb.767:                              ;   in Loop: Header=BB4_762 Depth=3
	ds_load_b64 v[8:9], v0
	s_and_not1_b32 s28, s28, exec_lo
	s_mov_b32 s20, 0
	s_mov_b32 s30, -1
	s_waitcnt lgkmcnt(0)
	s_waitcnt_vscnt null, 0x0
	flat_load_b32 v2, v[8:9] glc
	s_waitcnt vmcnt(0) lgkmcnt(0)
	buffer_gl1_inv
	buffer_gl0_inv
	v_cmp_eq_u32_e32 vcc_lo, 0, v2
	s_and_b32 vcc_lo, vcc_lo, exec_lo
	s_delay_alu instid0(SALU_CYCLE_1)
	s_or_b32 s28, s28, vcc_lo
	s_branch .LBB4_763
.LBB4_768:                              ;   in Loop: Header=BB4_569 Depth=2
	s_or_b32 exec_lo, exec_lo, s15
	s_and_saveexec_b32 s15, s16
	s_delay_alu instid0(SALU_CYCLE_1)
	s_xor_b32 s15, exec_lo, s15
	s_cbranch_execz .LBB4_770
; %bb.769:                              ;   in Loop: Header=BB4_569 Depth=2
	ds_store_b32 v0, v128
	s_cbranch_execnz .LBB4_1936
.LBB4_770:                              ;   in Loop: Header=BB4_569 Depth=2
	s_or_b32 exec_lo, exec_lo, s14
	;;#ASMSTART
	s_wakeup
	;;#ASMEND
.LBB4_771:                              ;   in Loop: Header=BB4_569 Depth=2
	s_or_b32 exec_lo, exec_lo, s13
.LBB4_772:                              ;   in Loop: Header=BB4_569 Depth=2
	s_and_not1_saveexec_b32 s3, s3
	s_cbranch_execz .LBB4_774
; %bb.773:                              ;   in Loop: Header=BB4_569 Depth=2
	;;#ASMSTART
	s_waitcnt lgkmcnt(0) vmcnt(0)
	;;#ASMEND
	s_waitcnt lgkmcnt(0)
	s_waitcnt_vscnt null, 0x0
	s_barrier
.LBB4_774:                              ;   in Loop: Header=BB4_569 Depth=2
	s_or_b32 exec_lo, exec_lo, s3
	v_and_b32_e32 v2, 16, v30
.LBB4_775:                              ;   in Loop: Header=BB4_569 Depth=2
	s_or_b32 exec_lo, exec_lo, s6
	s_delay_alu instid0(VALU_DEP_1) | instskip(SKIP_1) | instid1(SALU_CYCLE_1)
	v_cmp_ne_u32_e32 vcc_lo, 0, v2
	s_xor_b32 s3, s10, -1
	s_and_b32 s6, vcc_lo, s3
	s_delay_alu instid0(SALU_CYCLE_1)
	s_and_saveexec_b32 s3, s6
	s_cbranch_execz .LBB4_777
; %bb.776:                              ;   in Loop: Header=BB4_569 Depth=2
	s_waitcnt lgkmcnt(0)
	s_waitcnt_vscnt null, 0x0
	flat_store_b32 v[26:27], v128
.LBB4_777:                              ;   in Loop: Header=BB4_569 Depth=2
	s_or_b32 exec_lo, exec_lo, s3
	v_and_b32_e32 v2, 48, v30
	s_mov_b32 s3, exec_lo
	s_delay_alu instid0(VALU_DEP_1)
	v_cmpx_ne_u32_e32 0, v2
	s_cbranch_execz .LBB4_779
; %bb.778:                              ;   in Loop: Header=BB4_569 Depth=2
	v_add_co_u32 v22, vcc_lo, v22, 2
	v_add_co_ci_u32_e32 v23, vcc_lo, 0, v23, vcc_lo
	s_waitcnt lgkmcnt(0)
	s_waitcnt_vscnt null, 0x0
	flat_store_b64 v[20:21], v[22:23]
.LBB4_779:                              ;   in Loop: Header=BB4_569 Depth=2
	s_or_b32 exec_lo, exec_lo, s3
	v_add_nc_u32_e32 v52, v50, v52
	v_readlane_b32 s3, v42, 7
	v_readlane_b32 s17, v42, 9
	;; [unrolled: 1-line block ×4, first 2 shown]
	v_cmp_ge_i32_e32 vcc_lo, v52, v129
	s_xor_b32 s3, s3, -1
	v_readlane_b32 s31, v42, 12
	v_readlane_b32 s34, v42, 14
	;; [unrolled: 1-line block ×3, first 2 shown]
	s_or_b32 s3, s3, vcc_lo
	s_mov_b32 s30, 0
	s_and_b32 s6, exec_lo, s3
	v_readlane_b32 s3, v42, 8
	s_or_b32 s17, s6, s17
	s_mov_b32 s15, 2
	s_mov_b32 s36, vcc_hi
	s_delay_alu instid0(VALU_DEP_1)
	v_mov_b32_e32 v2, s3
	s_and_not1_b32 exec_lo, exec_lo, s17
	s_cbranch_execnz .LBB4_569
; %bb.780:                              ;   in Loop: Header=BB4_51 Depth=1
	s_or_b32 exec_lo, exec_lo, s17
	v_readlane_b32 s3, v42, 6
.LBB4_781:                              ;   in Loop: Header=BB4_51 Depth=1
	s_delay_alu instid0(VALU_DEP_1) | instskip(NEXT) | instid1(SALU_CYCLE_1)
	s_or_b32 exec_lo, exec_lo, s3
	s_mov_b32 s15, exec_lo
	v_cmpx_gt_i32_e32 2, v2
	s_cbranch_execz .LBB4_867
; %bb.782:                              ;   in Loop: Header=BB4_51 Depth=1
	v_cmp_eq_u32_e64 s6, 0, v2
	s_mov_b32 s16, s5
	s_mov_b32 s17, s12
	;; [unrolled: 1-line block ×6, first 2 shown]
.LBB4_783:                              ;   Parent Loop BB4_51 Depth=1
                                        ; =>  This Loop Header: Depth=2
                                        ;       Child Loop BB4_789 Depth 3
                                        ;       Child Loop BB4_821 Depth 3
	;; [unrolled: 1-line block ×3, first 2 shown]
	v_and_b32_e32 v2, 12, v30
	s_mov_b32 s13, -1
	s_mov_b32 s3, exec_lo
	s_delay_alu instid0(VALU_DEP_1)
	v_cmpx_ne_u32_e32 0, v2
	s_cbranch_execz .LBB4_797
; %bb.784:                              ;   in Loop: Header=BB4_783 Depth=2
	v_and_b32_e32 v2, 8, v30
	s_delay_alu instid0(VALU_DEP_1) | instskip(SKIP_3) | instid1(VALU_DEP_1)
	v_add_co_u32 v10, vcc_lo, v28, v2
	v_add_co_ci_u32_e32 v11, vcc_lo, 0, v29, vcc_lo
	v_add_co_u32 v8, vcc_lo, v22, 2
	v_add_co_ci_u32_e32 v9, vcc_lo, 0, v23, vcc_lo
	v_cmp_lt_u64_e32 vcc_lo, v[10:11], v[8:9]
	v_mov_b32_e32 v10, 1
	s_and_saveexec_b32 s13, vcc_lo
	s_cbranch_execz .LBB4_796
; %bb.785:                              ;   in Loop: Header=BB4_783 Depth=2
	v_mov_b32_e32 v10, 0
	s_mov_b32 s20, 0
                                        ; implicit-def: $sgpr28
	s_branch .LBB4_789
.LBB4_786:                              ;   in Loop: Header=BB4_789 Depth=3
	s_or_b32 exec_lo, exec_lo, s38
	v_mov_b32_e32 v11, 0
	s_or_not1_b32 s37, s37, exec_lo
.LBB4_787:                              ;   in Loop: Header=BB4_789 Depth=3
	s_or_b32 exec_lo, exec_lo, s34
	s_delay_alu instid0(VALU_DEP_1) | instskip(SKIP_2) | instid1(SALU_CYCLE_1)
	v_mov_b32_e32 v10, v11
	s_and_not1_b32 s28, s28, exec_lo
	s_and_b32 vcc_lo, s37, exec_lo
	s_or_b32 s28, s28, vcc_lo
.LBB4_788:                              ;   in Loop: Header=BB4_789 Depth=3
	s_or_b32 exec_lo, exec_lo, vcc_hi
	s_waitcnt vmcnt(0) lgkmcnt(0)
	v_add_co_u32 v53, vcc_lo, v28, v2
	v_add_co_ci_u32_e32 v54, vcc_lo, 0, v29, vcc_lo
	s_delay_alu instid0(VALU_DEP_1) | instskip(SKIP_1) | instid1(SALU_CYCLE_1)
	v_cmp_ge_u64_e32 vcc_lo, v[53:54], v[8:9]
	s_xor_b32 vcc_hi, s28, -1
	s_or_b32 vcc_lo, vcc_hi, vcc_lo
	s_delay_alu instid0(SALU_CYCLE_1) | instskip(NEXT) | instid1(SALU_CYCLE_1)
	s_and_b32 vcc_lo, exec_lo, vcc_lo
	s_or_b32 s20, vcc_lo, s20
	s_delay_alu instid0(SALU_CYCLE_1)
	s_and_not1_b32 exec_lo, exec_lo, s20
	s_cbranch_execz .LBB4_795
.LBB4_789:                              ;   Parent Loop BB4_51 Depth=1
                                        ;     Parent Loop BB4_783 Depth=2
                                        ; =>    This Inner Loop Header: Depth=3
	s_sleep 1
	flat_load_b64 v[28:29], v[20:21] glc
	v_and_b32_e32 v11, 64, v30
	s_and_not1_b32 s28, s28, exec_lo
	s_mov_b32 vcc_hi, exec_lo
	s_delay_alu instid0(VALU_DEP_1)
	v_cmpx_eq_u32_e32 0, v11
	s_cbranch_execz .LBB4_788
; %bb.790:                              ;   in Loop: Header=BB4_789 Depth=3
	v_add_nc_u32_e32 v11, 1, v10
	s_mov_b32 s37, -1
	s_mov_b32 s34, exec_lo
	v_cmpx_lt_i32_e32 0x270e, v10
	s_cbranch_execz .LBB4_787
; %bb.791:                              ;   in Loop: Header=BB4_789 Depth=3
	s_cbranch_execnz .LBB4_1530
; %bb.792:                              ;   in Loop: Header=BB4_789 Depth=3
	ds_load_b64 v[10:11], v0
	s_mov_b32 s38, exec_lo
	s_waitcnt vmcnt(0) lgkmcnt(0)
	s_waitcnt_vscnt null, 0x0
	flat_load_b32 v10, v[10:11] glc
	s_waitcnt vmcnt(0) lgkmcnt(0)
	buffer_gl1_inv
	buffer_gl0_inv
	v_cmpx_ne_u32_e32 0, v10
	s_cbranch_execz .LBB4_786
; %bb.793:                              ;   in Loop: Header=BB4_789 Depth=3
	ds_store_b32 v0, v10
	s_cbranch_execnz .LBB4_1584
; %bb.794:                              ;   in Loop: Header=BB4_789 Depth=3
	v_or_b32_e32 v30, 64, v30
	s_xor_b32 s37, exec_lo, -1
	s_branch .LBB4_786
.LBB4_795:                              ;   in Loop: Header=BB4_783 Depth=2
	s_or_b32 exec_lo, exec_lo, s20
	v_and_b32_e32 v10, 12, v30
.LBB4_796:                              ;   in Loop: Header=BB4_783 Depth=2
	s_or_b32 exec_lo, exec_lo, s13
	s_delay_alu instid0(VALU_DEP_1)
	v_cmp_eq_u32_e32 vcc_lo, 0, v10
	;;#ASMSTART
	s_wakeup
	;;#ASMEND
	s_or_not1_b32 s13, vcc_lo, exec_lo
.LBB4_797:                              ;   in Loop: Header=BB4_783 Depth=2
	s_or_b32 exec_lo, exec_lo, s3
	v_sub_nc_u32_e32 v2, v129, v52
	s_xor_b32 s3, s6, -1
	s_delay_alu instid0(SALU_CYCLE_1) | instskip(NEXT) | instid1(SALU_CYCLE_1)
	s_and_b32 s3, exec_lo, s3
	s_or_b32 s31, s3, s31
	s_delay_alu instid0(VALU_DEP_1) | instskip(SKIP_1) | instid1(SALU_CYCLE_1)
	v_min_i32_e32 v50, v50, v2
	s_xor_b32 s6, s13, -1
	s_and_saveexec_b32 s3, s6
	s_cbranch_execz .LBB4_812
; %bb.798:                              ;   in Loop: Header=BB4_783 Depth=2
	v_and_b32_e32 v2, 0x108, v30
	s_mov_b32 s6, exec_lo
	s_delay_alu instid0(VALU_DEP_1)
	v_cmpx_ne_u32_e32 0x108, v2
	s_xor_b32 s6, exec_lo, s6
                                        ; implicit-def: $vgpr8_vgpr9
; %bb.799:                              ;   in Loop: Header=BB4_783 Depth=2
	v_and_b32_e32 v8, 7, v22
; %bb.800:                              ;   in Loop: Header=BB4_783 Depth=2
	s_and_not1_saveexec_b32 s6, s6
	s_cbranch_execz .LBB4_802
; %bb.801:                              ;   in Loop: Header=BB4_783 Depth=2
	v_and_b32_e32 v8, 7, v22
	v_ashrrev_i32_e32 v51, 31, v50
	s_delay_alu instid0(VALU_DEP_2) | instskip(NEXT) | instid1(VALU_DEP_2)
	v_mad_u64_u32 v[9:10], null, v8, 24, v[6:7]
	v_lshlrev_b64 v[53:54], 3, v[50:51]
	flat_store_b64 v[9:10], v[53:54] offset:8
.LBB4_802:                              ;   in Loop: Header=BB4_783 Depth=2
	s_or_b32 exec_lo, exec_lo, s6
	v_and_b32_e32 v2, 0x100, v30
	s_mov_b32 s13, -1
	s_mov_b32 s6, exec_lo
                                        ; implicit-def: $vgpr9_vgpr10
	s_delay_alu instid0(VALU_DEP_1)
	v_cmpx_ne_u32_e32 0, v2
	s_cbranch_execnz .LBB4_805
; %bb.803:                              ;   in Loop: Header=BB4_783 Depth=2
	s_or_b32 exec_lo, exec_lo, s6
	s_and_saveexec_b32 s6, s13
	s_cbranch_execnz .LBB4_808
.LBB4_804:                              ;   in Loop: Header=BB4_783 Depth=2
	s_or_b32 exec_lo, exec_lo, s6
	s_cbranch_execnz .LBB4_1526
	s_branch .LBB4_809
.LBB4_805:                              ;   in Loop: Header=BB4_783 Depth=2
	v_mad_u64_u32 v[53:54], null, v8, 24, v[6:7]
	s_mov_b32 s20, exec_lo
	s_delay_alu instid0(VALU_DEP_1) | instskip(NEXT) | instid1(VALU_DEP_1)
	v_mov_b32_e32 v2, v54
	v_mad_u64_u32 v[9:10], null, v3, 24, v[2:3]
	s_delay_alu instid0(VALU_DEP_1)
	v_mov_b32_e32 v54, v9
                                        ; implicit-def: $vgpr9_vgpr10
	flat_load_b32 v2, v[53:54]
	s_waitcnt vmcnt(0) lgkmcnt(0)
	v_cmp_ne_u32_e32 vcc_lo, 1, v2
	v_cmpx_eq_u32_e32 1, v2
	s_cbranch_execz .LBB4_807
; %bb.806:                              ;   in Loop: Header=BB4_783 Depth=2
	flat_load_b32 v9, v[53:54] offset:4 glc
	s_waitcnt vmcnt(0) lgkmcnt(0)
	v_ashrrev_i32_e32 v10, 31, v9
	s_delay_alu instid0(VALU_DEP_1)
	v_lshrrev_b64 v[9:10], 3, v[9:10]
.LBB4_807:                              ;   in Loop: Header=BB4_783 Depth=2
	s_or_b32 exec_lo, exec_lo, s20
	s_delay_alu instid0(SALU_CYCLE_1)
	s_or_not1_b32 s13, vcc_lo, exec_lo
	s_or_b32 exec_lo, exec_lo, s6
	s_and_saveexec_b32 s6, s13
	s_cbranch_execz .LBB4_804
.LBB4_808:                              ;   in Loop: Header=BB4_783 Depth=2
	v_mul_lo_u32 v2, v3, v81
	v_mul_lo_u32 v11, v8, v82
	v_mad_u64_u32 v[9:10], null, v8, v81, 0
	s_delay_alu instid0(VALU_DEP_1)
	v_add3_u32 v10, v10, v11, v2
	s_or_b32 exec_lo, exec_lo, s6
	s_cbranch_execnz .LBB4_1526
.LBB4_809:                              ;   in Loop: Header=BB4_783 Depth=2
	s_delay_alu instid0(VALU_DEP_1) | instskip(SKIP_2) | instid1(VALU_DEP_2)
	v_lshlrev_b64 v[8:9], 3, v[9:10]
	v_and_b32_e32 v2, 0x2000, v30
	s_mov_b32 s6, exec_lo
	v_add_co_u32 v8, vcc_lo, v24, v8
	s_delay_alu instid0(VALU_DEP_3)
	v_add_co_ci_u32_e32 v9, vcc_lo, v25, v9, vcc_lo
	ds_store_b64 v0, v[8:9]
	v_cmpx_ne_u32_e32 0, v2
	s_cbranch_execz .LBB4_811
; %bb.810:                              ;   in Loop: Header=BB4_783 Depth=2
	ds_load_b64 v[8:9], v0 offset:584
	s_waitcnt lgkmcnt(0)
	v_add_co_u32 v8, vcc_lo, v8, 1
	v_add_co_ci_u32_e32 v9, vcc_lo, 0, v9, vcc_lo
	ds_store_b64 v0, v[8:9] offset:584
.LBB4_811:                              ;   in Loop: Header=BB4_783 Depth=2
	s_or_b32 exec_lo, exec_lo, s6
	v_add_co_u32 v22, vcc_lo, v22, 2
	v_add_co_ci_u32_e32 v23, vcc_lo, 0, v23, vcc_lo
.LBB4_812:                              ;   in Loop: Header=BB4_783 Depth=2
	s_or_b32 exec_lo, exec_lo, s3
	s_and_saveexec_b32 s6, s36
	s_cbranch_execz .LBB4_834
; %bb.813:                              ;   in Loop: Header=BB4_783 Depth=2
	s_and_saveexec_b32 s3, s4
	s_delay_alu instid0(SALU_CYCLE_1)
	s_xor_b32 s3, exec_lo, s3
	s_cbranch_execz .LBB4_831
; %bb.814:                              ;   in Loop: Header=BB4_783 Depth=2
	s_and_saveexec_b32 s13, s1
	s_cbranch_execz .LBB4_830
; %bb.815:                              ;   in Loop: Header=BB4_783 Depth=2
	s_mov_b32 s28, exec_lo
	s_mov_b32 s20, exec_lo
	v_mbcnt_lo_u32_b32 v2, s28, 0
	s_waitcnt lgkmcnt(0)
	s_waitcnt_vscnt null, 0x0
	buffer_gl1_inv
	buffer_gl0_inv
	v_cmpx_eq_u32_e32 0, v2
	s_cbranch_execz .LBB4_817
; %bb.816:                              ;   in Loop: Header=BB4_783 Depth=2
	s_bcnt1_i32_b32 s28, s28
	s_delay_alu instid0(SALU_CYCLE_1)
	v_mov_b32_e32 v2, s28
	ds_add_u64 v0, v[2:3]
	s_cbranch_execnz .LBB4_1642
.LBB4_817:                              ;   in Loop: Header=BB4_783 Depth=2
	s_or_b32 exec_lo, exec_lo, s20
	s_cbranch_execnz .LBB4_1616
; %bb.818:                              ;   in Loop: Header=BB4_783 Depth=2
	ds_load_b64 v[8:9], v0
	v_add_co_u32 v12, vcc_lo, v12, v83
	v_add_co_ci_u32_e32 v13, vcc_lo, 0, v13, vcc_lo
	s_mov_b32 s20, exec_lo
	s_waitcnt lgkmcnt(0)
	s_delay_alu instid0(VALU_DEP_1)
	v_cmpx_lt_u64_e64 v[8:9], v[12:13]
	s_cbranch_execz .LBB4_829
; %bb.819:                              ;   in Loop: Header=BB4_783 Depth=2
	s_mov_b32 s28, 0
	s_mov_b32 s37, 0
                                        ; implicit-def: $vcc_hi
                                        ; implicit-def: $sgpr34
	s_branch .LBB4_821
.LBB4_820:                              ;   in Loop: Header=BB4_821 Depth=3
	s_or_b32 exec_lo, exec_lo, s39
	s_delay_alu instid0(SALU_CYCLE_1) | instskip(NEXT) | instid1(SALU_CYCLE_1)
	s_and_b32 vcc_lo, exec_lo, vcc_lo
	s_or_b32 s28, vcc_lo, s28
	s_and_not1_b32 vcc_lo, vcc_hi, exec_lo
	s_and_b32 vcc_hi, s34, exec_lo
	s_delay_alu instid0(SALU_CYCLE_1)
	s_or_b32 vcc_hi, vcc_lo, vcc_hi
	s_and_not1_b32 exec_lo, exec_lo, s28
	s_cbranch_execz .LBB4_827
.LBB4_821:                              ;   Parent Loop BB4_51 Depth=1
                                        ;     Parent Loop BB4_783 Depth=2
                                        ; =>    This Inner Loop Header: Depth=3
	s_add_i32 s37, s37, 1
                                        ; implicit-def: $sgpr39
	s_delay_alu instid0(SALU_CYCLE_1) | instskip(SKIP_1) | instid1(SALU_CYCLE_1)
	s_cmpk_lg_i32 s37, 0x2710
	s_cselect_b32 s38, -1, 0
	s_and_b32 vcc_lo, exec_lo, s38
	s_cbranch_vccz .LBB4_825
.LBB4_822:                              ;   in Loop: Header=BB4_821 Depth=3
	s_and_not1_b32 s34, s34, exec_lo
	s_and_b32 s39, s39, exec_lo
	s_mov_b32 vcc_lo, -1
	s_or_b32 s34, s34, s39
	s_and_saveexec_b32 s39, s38
	s_cbranch_execz .LBB4_820
; %bb.823:                              ;   in Loop: Header=BB4_821 Depth=3
	s_sleep 1
	s_cbranch_execnz .LBB4_1686
; %bb.824:                              ;   in Loop: Header=BB4_821 Depth=3
	ds_load_b64 v[8:9], v0
	s_and_not1_b32 s34, s34, exec_lo
	s_waitcnt lgkmcnt(0)
	v_cmp_ge_u64_e32 vcc_lo, v[8:9], v[12:13]
	s_or_not1_b32 vcc_lo, vcc_lo, exec_lo
	s_branch .LBB4_820
.LBB4_825:                              ;   in Loop: Header=BB4_821 Depth=3
	s_cbranch_execnz .LBB4_1698
; %bb.826:                              ;   in Loop: Header=BB4_821 Depth=3
	ds_load_b64 v[8:9], v0
	s_and_not1_b32 s38, s38, exec_lo
	s_mov_b32 s37, 0
	s_mov_b32 s39, -1
	s_waitcnt lgkmcnt(0)
	flat_load_b32 v2, v[8:9] glc
	s_waitcnt vmcnt(0) lgkmcnt(0)
	buffer_gl1_inv
	buffer_gl0_inv
	v_cmp_eq_u32_e32 vcc_lo, 0, v2
	s_and_b32 vcc_lo, vcc_lo, exec_lo
	s_delay_alu instid0(SALU_CYCLE_1)
	s_or_b32 s38, s38, vcc_lo
	s_branch .LBB4_822
.LBB4_827:                              ;   in Loop: Header=BB4_783 Depth=2
	s_or_b32 exec_lo, exec_lo, s28
	s_and_saveexec_b32 s28, vcc_hi
	s_delay_alu instid0(SALU_CYCLE_1)
	s_xor_b32 s28, exec_lo, s28
	s_cbranch_execz .LBB4_829
; %bb.828:                              ;   in Loop: Header=BB4_783 Depth=2
	ds_store_b32 v0, v128
	s_cbranch_execnz .LBB4_1896
.LBB4_829:                              ;   in Loop: Header=BB4_783 Depth=2
	s_or_b32 exec_lo, exec_lo, s20
	;;#ASMSTART
	s_wakeup
	;;#ASMEND
.LBB4_830:                              ;   in Loop: Header=BB4_783 Depth=2
	s_or_b32 exec_lo, exec_lo, s13
.LBB4_831:                              ;   in Loop: Header=BB4_783 Depth=2
	s_and_not1_saveexec_b32 s3, s3
	s_cbranch_execz .LBB4_833
; %bb.832:                              ;   in Loop: Header=BB4_783 Depth=2
	s_waitcnt lgkmcnt(0)
	s_waitcnt_vscnt null, 0x0
	buffer_gl1_inv
	buffer_gl0_inv
	s_barrier
.LBB4_833:                              ;   in Loop: Header=BB4_783 Depth=2
	s_or_b32 exec_lo, exec_lo, s3
.LBB4_834:                              ;   in Loop: Header=BB4_783 Depth=2
	s_delay_alu instid0(SALU_CYCLE_1) | instskip(SKIP_1) | instid1(SALU_CYCLE_1)
	s_or_b32 exec_lo, exec_lo, s6
                                        ; implicit-def: $vgpr2
	s_and_saveexec_b32 s3, s7
	s_xor_b32 s3, exec_lo, s3
	s_cbranch_execz .LBB4_839
; %bb.835:                              ;   in Loop: Header=BB4_783 Depth=2
	s_cbranch_execnz .LBB4_1540
; %bb.836:                              ;   in Loop: Header=BB4_783 Depth=2
	ds_load_b32 v2, v0
	v_cmp_lt_i32_e32 vcc_lo, 0, v50
	s_waitcnt lgkmcnt(0)
	v_readfirstlane_b32 s6, v2
	v_and_b32_e32 v2, 16, v30
	s_delay_alu instid0(VALU_DEP_2) | instskip(NEXT) | instid1(VALU_DEP_1)
	s_cmp_eq_u32 s6, 0
	v_cmp_ne_u32_e64 s13, 0, v2
	s_cselect_b32 s6, -1, 0
	v_and_b32_e32 v2, 16, v30
	s_and_b32 s6, vcc_lo, s6
	s_delay_alu instid0(VALU_DEP_2) | instid1(SALU_CYCLE_1)
	s_and_b32 s13, s13, s6
	s_delay_alu instid0(SALU_CYCLE_1)
	s_and_saveexec_b32 s6, s13
	s_cbranch_execz .LBB4_838
; %bb.837:                              ;   in Loop: Header=BB4_783 Depth=2
	v_mov_b32_e32 v2, 1
	s_waitcnt_vscnt null, 0x0
	buffer_gl1_inv
	buffer_gl0_inv
.LBB4_838:                              ;   in Loop: Header=BB4_783 Depth=2
	s_or_b32 exec_lo, exec_lo, s6
.LBB4_839:                              ;   in Loop: Header=BB4_783 Depth=2
	s_and_not1_saveexec_b32 s6, s3
	s_cbranch_execz .LBB4_861
; %bb.840:                              ;   in Loop: Header=BB4_783 Depth=2
	s_and_saveexec_b32 s3, s4
	s_delay_alu instid0(SALU_CYCLE_1)
	s_xor_b32 s3, exec_lo, s3
	s_cbranch_execz .LBB4_858
; %bb.841:                              ;   in Loop: Header=BB4_783 Depth=2
	s_and_saveexec_b32 s13, s1
	s_cbranch_execz .LBB4_857
; %bb.842:                              ;   in Loop: Header=BB4_783 Depth=2
	s_mov_b32 s28, exec_lo
	s_mov_b32 s20, exec_lo
	v_mbcnt_lo_u32_b32 v2, s28, 0
	;;#ASMSTART
	s_waitcnt lgkmcnt(0) vmcnt(0)
	;;#ASMEND
	s_delay_alu instid0(VALU_DEP_1)
	v_cmpx_eq_u32_e32 0, v2
	s_cbranch_execz .LBB4_844
; %bb.843:                              ;   in Loop: Header=BB4_783 Depth=2
	s_bcnt1_i32_b32 s28, s28
	s_delay_alu instid0(SALU_CYCLE_1)
	v_mov_b32_e32 v2, s28
	ds_add_u64 v0, v[2:3]
	s_cbranch_execnz .LBB4_1652
.LBB4_844:                              ;   in Loop: Header=BB4_783 Depth=2
	s_or_b32 exec_lo, exec_lo, s20
	s_cbranch_execnz .LBB4_1640
; %bb.845:                              ;   in Loop: Header=BB4_783 Depth=2
	ds_load_b64 v[8:9], v0
	v_add_co_u32 v12, vcc_lo, v12, v83
	v_add_co_ci_u32_e32 v13, vcc_lo, 0, v13, vcc_lo
	s_mov_b32 s20, exec_lo
	s_waitcnt lgkmcnt(0)
	s_delay_alu instid0(VALU_DEP_1)
	v_cmpx_lt_u64_e64 v[8:9], v[12:13]
	s_cbranch_execz .LBB4_856
; %bb.846:                              ;   in Loop: Header=BB4_783 Depth=2
	s_mov_b32 s28, 0
	s_mov_b32 s37, 0
                                        ; implicit-def: $vcc_hi
                                        ; implicit-def: $sgpr34
	s_branch .LBB4_848
.LBB4_847:                              ;   in Loop: Header=BB4_848 Depth=3
	s_or_b32 exec_lo, exec_lo, s39
	s_delay_alu instid0(SALU_CYCLE_1) | instskip(NEXT) | instid1(SALU_CYCLE_1)
	s_and_b32 vcc_lo, exec_lo, vcc_lo
	s_or_b32 s28, vcc_lo, s28
	s_and_not1_b32 vcc_lo, vcc_hi, exec_lo
	s_and_b32 vcc_hi, s34, exec_lo
	s_delay_alu instid0(SALU_CYCLE_1)
	s_or_b32 vcc_hi, vcc_lo, vcc_hi
	s_and_not1_b32 exec_lo, exec_lo, s28
	s_cbranch_execz .LBB4_854
.LBB4_848:                              ;   Parent Loop BB4_51 Depth=1
                                        ;     Parent Loop BB4_783 Depth=2
                                        ; =>    This Inner Loop Header: Depth=3
	s_add_i32 s37, s37, 1
                                        ; implicit-def: $sgpr39
	s_delay_alu instid0(SALU_CYCLE_1) | instskip(SKIP_1) | instid1(SALU_CYCLE_1)
	s_cmpk_lg_i32 s37, 0x2710
	s_cselect_b32 s38, -1, 0
	s_and_b32 vcc_lo, exec_lo, s38
	s_cbranch_vccz .LBB4_852
.LBB4_849:                              ;   in Loop: Header=BB4_848 Depth=3
	s_and_not1_b32 s34, s34, exec_lo
	s_and_b32 s39, s39, exec_lo
	s_mov_b32 vcc_lo, -1
	s_or_b32 s34, s34, s39
	s_and_saveexec_b32 s39, s38
	s_cbranch_execz .LBB4_847
; %bb.850:                              ;   in Loop: Header=BB4_848 Depth=3
	s_sleep 1
	s_cbranch_execnz .LBB4_1710
; %bb.851:                              ;   in Loop: Header=BB4_848 Depth=3
	ds_load_b64 v[8:9], v0
	s_and_not1_b32 s34, s34, exec_lo
	s_waitcnt lgkmcnt(0)
	v_cmp_ge_u64_e32 vcc_lo, v[8:9], v[12:13]
	s_or_not1_b32 vcc_lo, vcc_lo, exec_lo
	s_branch .LBB4_847
.LBB4_852:                              ;   in Loop: Header=BB4_848 Depth=3
	s_cbranch_execnz .LBB4_1722
; %bb.853:                              ;   in Loop: Header=BB4_848 Depth=3
	ds_load_b64 v[8:9], v0
	s_and_not1_b32 s38, s38, exec_lo
	s_mov_b32 s37, 0
	s_mov_b32 s39, -1
	s_waitcnt lgkmcnt(0)
	s_waitcnt_vscnt null, 0x0
	flat_load_b32 v2, v[8:9] glc
	s_waitcnt vmcnt(0) lgkmcnt(0)
	buffer_gl1_inv
	buffer_gl0_inv
	v_cmp_eq_u32_e32 vcc_lo, 0, v2
	s_and_b32 vcc_lo, vcc_lo, exec_lo
	s_delay_alu instid0(SALU_CYCLE_1)
	s_or_b32 s38, s38, vcc_lo
	s_branch .LBB4_849
.LBB4_854:                              ;   in Loop: Header=BB4_783 Depth=2
	s_or_b32 exec_lo, exec_lo, s28
	s_and_saveexec_b32 s28, vcc_hi
	s_delay_alu instid0(SALU_CYCLE_1)
	s_xor_b32 s28, exec_lo, s28
	s_cbranch_execz .LBB4_856
; %bb.855:                              ;   in Loop: Header=BB4_783 Depth=2
	ds_store_b32 v0, v128
	s_cbranch_execnz .LBB4_1908
.LBB4_856:                              ;   in Loop: Header=BB4_783 Depth=2
	s_or_b32 exec_lo, exec_lo, s20
	;;#ASMSTART
	s_wakeup
	;;#ASMEND
.LBB4_857:                              ;   in Loop: Header=BB4_783 Depth=2
	s_or_b32 exec_lo, exec_lo, s13
.LBB4_858:                              ;   in Loop: Header=BB4_783 Depth=2
	s_and_not1_saveexec_b32 s3, s3
	s_cbranch_execz .LBB4_860
; %bb.859:                              ;   in Loop: Header=BB4_783 Depth=2
	;;#ASMSTART
	s_waitcnt lgkmcnt(0) vmcnt(0)
	;;#ASMEND
	s_waitcnt lgkmcnt(0)
	s_waitcnt_vscnt null, 0x0
	s_barrier
.LBB4_860:                              ;   in Loop: Header=BB4_783 Depth=2
	s_or_b32 exec_lo, exec_lo, s3
	v_and_b32_e32 v2, 16, v30
.LBB4_861:                              ;   in Loop: Header=BB4_783 Depth=2
	s_or_b32 exec_lo, exec_lo, s6
	s_delay_alu instid0(VALU_DEP_1) | instskip(SKIP_1) | instid1(SALU_CYCLE_1)
	v_cmp_ne_u32_e32 vcc_lo, 0, v2
	s_xor_b32 s3, s10, -1
	s_and_b32 s6, vcc_lo, s3
	s_delay_alu instid0(SALU_CYCLE_1)
	s_and_saveexec_b32 s3, s6
	s_cbranch_execz .LBB4_863
; %bb.862:                              ;   in Loop: Header=BB4_783 Depth=2
	s_waitcnt lgkmcnt(0)
	s_waitcnt_vscnt null, 0x0
	flat_store_b32 v[26:27], v128
.LBB4_863:                              ;   in Loop: Header=BB4_783 Depth=2
	s_or_b32 exec_lo, exec_lo, s3
	v_and_b32_e32 v2, 48, v30
	s_mov_b32 s3, exec_lo
	s_delay_alu instid0(VALU_DEP_1)
	v_cmpx_ne_u32_e32 0, v2
	s_cbranch_execz .LBB4_865
; %bb.864:                              ;   in Loop: Header=BB4_783 Depth=2
	v_add_co_u32 v22, vcc_lo, v22, 2
	v_add_co_ci_u32_e32 v23, vcc_lo, 0, v23, vcc_lo
	s_waitcnt lgkmcnt(0)
	s_waitcnt_vscnt null, 0x0
	flat_store_b64 v[20:21], v[22:23]
.LBB4_865:                              ;   in Loop: Header=BB4_783 Depth=2
	s_or_b32 exec_lo, exec_lo, s3
	v_add_nc_u32_e32 v52, v50, v52
	s_mov_b32 s6, 0
	s_and_not1_b32 exec_lo, exec_lo, s31
	s_cbranch_execnz .LBB4_783
; %bb.866:                              ;   in Loop: Header=BB4_51 Depth=1
	s_or_b32 exec_lo, exec_lo, s31
	s_mov_b32 s31, s30
	s_mov_b32 s34, s12
	;; [unrolled: 1-line block ×5, first 2 shown]
.LBB4_867:                              ;   in Loop: Header=BB4_51 Depth=1
	v_writelane_b32 v42, s35, 11
	v_writelane_b32 v42, s31, 12
	;; [unrolled: 1-line block ×3, first 2 shown]
	s_or_b32 exec_lo, exec_lo, s15
	s_mov_b32 s3, s36
	s_mov_b32 s16, s34
	;; [unrolled: 1-line block ×3, first 2 shown]
	s_and_not1_b32 vcc_lo, exec_lo, s29
	s_cbranch_vccnz .LBB4_1163
; %bb.868:                              ;   in Loop: Header=BB4_51 Depth=1
	s_mov_b32 s6, 1
.LBB4_869:                              ;   Parent Loop BB4_51 Depth=1
                                        ; =>  This Loop Header: Depth=2
                                        ;       Child Loop BB4_871 Depth 3
                                        ;         Child Loop BB4_880 Depth 4
                                        ;         Child Loop BB4_912 Depth 4
                                        ;         Child Loop BB4_935 Depth 4
                                        ;         Child Loop BB4_960 Depth 4
                                        ;         Child Loop BB4_966 Depth 4
                                        ;           Child Loop BB4_967 Depth 5
                                        ;         Child Loop BB4_978 Depth 4
                                        ;         Child Loop BB4_984 Depth 4
                                        ;           Child Loop BB4_985 Depth 5
                                        ;         Child Loop BB4_999 Depth 4
                                        ;         Child Loop BB4_1005 Depth 4
	;; [unrolled: 1-line block ×6, first 2 shown]
                                        ;       Child Loop BB4_1080 Depth 3
                                        ;         Child Loop BB4_1086 Depth 4
                                        ;         Child Loop BB4_1116 Depth 4
	;; [unrolled: 1-line block ×3, first 2 shown]
	s_delay_alu instid0(SALU_CYCLE_1)
	v_writelane_b32 v42, s6, 17
	s_sub_i32 s6, s24, s6
	v_mov_b32_e32 v52, 0
	s_cmp_le_i32 s19, s6
	s_mov_b32 s31, 0
	s_cselect_b32 s13, s19, 0
	s_delay_alu instid0(SALU_CYCLE_1) | instskip(NEXT) | instid1(SALU_CYCLE_1)
	s_sub_i32 s6, s6, s13
	s_ashr_i32 s13, s6, 31
	v_mul_lo_u32 v2, v37, s6
	v_mad_u64_u32 v[8:9], null, v36, s6, 0
	v_mul_lo_u32 v10, v36, s13
	s_delay_alu instid0(VALU_DEP_1) | instskip(NEXT) | instid1(VALU_DEP_3)
	v_add3_u32 v9, v9, v10, v2
	v_sub_co_u32 v10, vcc_lo, v38, v8
	s_delay_alu instid0(VALU_DEP_2) | instskip(NEXT) | instid1(VALU_DEP_1)
	v_sub_co_ci_u32_e32 v11, vcc_lo, v39, v9, vcc_lo
	v_cmp_lt_i64_e32 vcc_lo, v[36:37], v[10:11]
	v_cndmask_b32_e32 v10, v10, v36, vcc_lo
	s_delay_alu instid0(VALU_DEP_1) | instskip(NEXT) | instid1(VALU_DEP_1)
	v_max_i32_e32 v66, 0, v10
	v_add_nc_u32_e32 v2, 31, v66
	s_delay_alu instid0(VALU_DEP_1) | instskip(NEXT) | instid1(VALU_DEP_1)
	v_lshrrev_b32_e32 v2, 1, v2
	v_and_b32_e32 v11, 0x3ffffff0, v2
	v_cmp_lt_i32_e32 vcc_lo, 0, v10
	v_mov_b32_e32 v2, 0
	s_delay_alu instid0(VALU_DEP_3) | instskip(SKIP_1) | instid1(SALU_CYCLE_1)
	v_max_i32_e32 v50, s25, v11
	s_and_b32 s6, s16, vcc_lo
	s_and_saveexec_b32 s30, s6
	s_cbranch_execz .LBB4_1078
; %bb.870:                              ;   in Loop: Header=BB4_869 Depth=2
	v_add_co_u32 v8, vcc_lo, v8, v48
	v_add_co_ci_u32_e32 v9, vcc_lo, v9, v49, vcc_lo
	v_mov_b32_e32 v52, 0
	s_mov_b32 s35, 1
	s_mov_b32 s34, -1
	s_delay_alu instid0(VALU_DEP_2)
	v_lshlrev_b64 v[54:55], 3, v[8:9]
.LBB4_871:                              ;   Parent Loop BB4_51 Depth=1
                                        ;     Parent Loop BB4_869 Depth=2
                                        ; =>    This Loop Header: Depth=3
                                        ;         Child Loop BB4_880 Depth 4
                                        ;         Child Loop BB4_912 Depth 4
	;; [unrolled: 1-line block ×5, first 2 shown]
                                        ;           Child Loop BB4_967 Depth 5
                                        ;         Child Loop BB4_978 Depth 4
                                        ;         Child Loop BB4_984 Depth 4
                                        ;           Child Loop BB4_985 Depth 5
                                        ;         Child Loop BB4_999 Depth 4
                                        ;         Child Loop BB4_1005 Depth 4
	;; [unrolled: 1-line block ×6, first 2 shown]
	s_and_saveexec_b32 s6, s0
	s_cbranch_execz .LBB4_874
; %bb.872:                              ;   in Loop: Header=BB4_871 Depth=3
	s_cbranch_execnz .LBB4_1564
; %bb.873:                              ;   in Loop: Header=BB4_871 Depth=3
	ds_load_b128 v[8:11], v0
	v_ashrrev_i32_e32 v53, 31, v52
	s_delay_alu instid0(VALU_DEP_1)
	v_lshlrev_b64 v[64:65], 3, v[52:53]
	s_waitcnt lgkmcnt(0)
	v_add_co_u32 v2, vcc_lo, v10, v54
	v_add_co_ci_u32_e32 v51, vcc_lo, v11, v55, vcc_lo
	v_add_co_u32 v8, vcc_lo, v8, v54
	v_add_co_ci_u32_e32 v9, vcc_lo, v9, v55, vcc_lo
	s_delay_alu instid0(VALU_DEP_4) | instskip(NEXT) | instid1(VALU_DEP_4)
	v_add_co_u32 v2, vcc_lo, v2, v64
	v_add_co_ci_u32_e32 v51, vcc_lo, v51, v65, vcc_lo
	v_cmp_ne_u64_e32 vcc_lo, 0, v[10:11]
	v_add_co_u32 v8, s13, v8, v64
	s_delay_alu instid0(VALU_DEP_1) | instskip(NEXT) | instid1(VALU_DEP_4)
	v_add_co_ci_u32_e64 v9, s13, v9, v65, s13
	v_dual_cndmask_b32 v11, 0, v51 :: v_dual_cndmask_b32 v10, 0, v2
	ds_store_b64 v0, v[8:9]
	ds_store_b64 v0, v[10:11]
.LBB4_874:                              ;   in Loop: Header=BB4_871 Depth=3
	s_or_b32 exec_lo, exec_lo, s6
	v_and_b32_e32 v2, 12, v30
	s_mov_b32 s13, -1
	s_mov_b32 s6, exec_lo
	s_delay_alu instid0(VALU_DEP_1)
	v_cmpx_ne_u32_e32 0, v2
	s_cbranch_execz .LBB4_888
; %bb.875:                              ;   in Loop: Header=BB4_871 Depth=3
	v_and_b32_e32 v2, 8, v30
	s_delay_alu instid0(VALU_DEP_1) | instskip(SKIP_3) | instid1(VALU_DEP_1)
	v_add_co_u32 v10, vcc_lo, v28, v2
	v_add_co_ci_u32_e32 v11, vcc_lo, 0, v29, vcc_lo
	v_add_co_u32 v8, vcc_lo, v22, 2
	v_add_co_ci_u32_e32 v9, vcc_lo, 0, v23, vcc_lo
	v_cmp_lt_u64_e32 vcc_lo, v[10:11], v[8:9]
	v_mov_b32_e32 v10, 1
	s_and_saveexec_b32 s13, vcc_lo
	s_cbranch_execz .LBB4_887
; %bb.876:                              ;   in Loop: Header=BB4_871 Depth=3
	v_mov_b32_e32 v10, 0
	s_mov_b32 s14, 0
                                        ; implicit-def: $sgpr15
	s_branch .LBB4_880
.LBB4_877:                              ;   in Loop: Header=BB4_880 Depth=4
	s_or_b32 exec_lo, exec_lo, s36
	v_mov_b32_e32 v11, 0
	s_or_not1_b32 vcc_hi, vcc_hi, exec_lo
.LBB4_878:                              ;   in Loop: Header=BB4_880 Depth=4
	s_or_b32 exec_lo, exec_lo, s28
	s_delay_alu instid0(VALU_DEP_1) | instskip(SKIP_2) | instid1(SALU_CYCLE_1)
	v_mov_b32_e32 v10, v11
	s_and_not1_b32 s15, s15, exec_lo
	s_and_b32 s28, vcc_hi, exec_lo
	s_or_b32 s15, s15, s28
.LBB4_879:                              ;   in Loop: Header=BB4_880 Depth=4
	s_or_b32 exec_lo, exec_lo, s20
	s_waitcnt vmcnt(0) lgkmcnt(0)
	v_add_co_u32 v64, vcc_lo, v28, v2
	v_add_co_ci_u32_e32 v65, vcc_lo, 0, v29, vcc_lo
	s_xor_b32 s20, s15, -1
	s_delay_alu instid0(VALU_DEP_1) | instskip(SKIP_1) | instid1(SALU_CYCLE_1)
	v_cmp_ge_u64_e32 vcc_lo, v[64:65], v[8:9]
	s_or_b32 s20, s20, vcc_lo
	s_and_b32 s20, exec_lo, s20
	s_delay_alu instid0(SALU_CYCLE_1) | instskip(NEXT) | instid1(SALU_CYCLE_1)
	s_or_b32 s14, s20, s14
	s_and_not1_b32 exec_lo, exec_lo, s14
	s_cbranch_execz .LBB4_886
.LBB4_880:                              ;   Parent Loop BB4_51 Depth=1
                                        ;     Parent Loop BB4_869 Depth=2
                                        ;       Parent Loop BB4_871 Depth=3
                                        ; =>      This Inner Loop Header: Depth=4
	s_sleep 1
	flat_load_b64 v[28:29], v[20:21] glc
	v_and_b32_e32 v11, 64, v30
	s_and_not1_b32 s15, s15, exec_lo
	s_mov_b32 s20, exec_lo
	s_delay_alu instid0(VALU_DEP_1)
	v_cmpx_eq_u32_e32 0, v11
	s_cbranch_execz .LBB4_879
; %bb.881:                              ;   in Loop: Header=BB4_880 Depth=4
	v_add_nc_u32_e32 v11, 1, v10
	s_mov_b32 vcc_hi, -1
	s_mov_b32 s28, exec_lo
	v_cmpx_lt_i32_e32 0x270e, v10
	s_cbranch_execz .LBB4_878
; %bb.882:                              ;   in Loop: Header=BB4_880 Depth=4
	s_cbranch_execnz .LBB4_1606
; %bb.883:                              ;   in Loop: Header=BB4_880 Depth=4
	ds_load_b64 v[10:11], v0
	s_mov_b32 s36, exec_lo
	s_waitcnt vmcnt(0) lgkmcnt(0)
	s_waitcnt_vscnt null, 0x0
	flat_load_b32 v10, v[10:11] glc
	s_waitcnt vmcnt(0) lgkmcnt(0)
	buffer_gl1_inv
	buffer_gl0_inv
	v_cmpx_ne_u32_e32 0, v10
	s_cbranch_execz .LBB4_877
; %bb.884:                              ;   in Loop: Header=BB4_880 Depth=4
	ds_store_b32 v0, v10
	s_cbranch_execnz .LBB4_1684
; %bb.885:                              ;   in Loop: Header=BB4_880 Depth=4
	v_or_b32_e32 v30, 64, v30
	s_xor_b32 vcc_hi, exec_lo, -1
	s_branch .LBB4_877
.LBB4_886:                              ;   in Loop: Header=BB4_871 Depth=3
	s_or_b32 exec_lo, exec_lo, s14
	v_and_b32_e32 v10, 12, v30
.LBB4_887:                              ;   in Loop: Header=BB4_871 Depth=3
	s_or_b32 exec_lo, exec_lo, s13
	s_delay_alu instid0(VALU_DEP_1)
	v_cmp_eq_u32_e32 vcc_lo, 0, v10
	;;#ASMSTART
	s_wakeup
	;;#ASMEND
	s_or_not1_b32 s13, vcc_lo, exec_lo
.LBB4_888:                              ;   in Loop: Header=BB4_871 Depth=3
	s_or_b32 exec_lo, exec_lo, s6
	v_sub_nc_u32_e32 v2, v66, v52
	s_xor_b32 s13, s13, -1
	s_delay_alu instid0(VALU_DEP_1)
	v_min_i32_e32 v50, v50, v2
	s_and_saveexec_b32 s6, s13
	s_cbranch_execz .LBB4_903
; %bb.889:                              ;   in Loop: Header=BB4_871 Depth=3
	v_and_b32_e32 v2, 0x108, v30
	s_mov_b32 s13, exec_lo
	s_delay_alu instid0(VALU_DEP_1)
	v_cmpx_ne_u32_e32 0x108, v2
	s_xor_b32 s13, exec_lo, s13
                                        ; implicit-def: $vgpr8_vgpr9
; %bb.890:                              ;   in Loop: Header=BB4_871 Depth=3
	v_and_b32_e32 v8, 7, v22
; %bb.891:                              ;   in Loop: Header=BB4_871 Depth=3
	s_and_not1_saveexec_b32 s13, s13
	s_cbranch_execz .LBB4_893
; %bb.892:                              ;   in Loop: Header=BB4_871 Depth=3
	v_and_b32_e32 v8, 7, v22
	v_ashrrev_i32_e32 v51, 31, v50
	s_delay_alu instid0(VALU_DEP_2) | instskip(NEXT) | instid1(VALU_DEP_2)
	v_mad_u64_u32 v[9:10], null, v8, 24, v[6:7]
	v_lshlrev_b64 v[64:65], 3, v[50:51]
	flat_store_b64 v[9:10], v[64:65] offset:8
.LBB4_893:                              ;   in Loop: Header=BB4_871 Depth=3
	s_or_b32 exec_lo, exec_lo, s13
	v_and_b32_e32 v2, 0x100, v30
	s_mov_b32 s13, -1
	s_mov_b32 s14, exec_lo
                                        ; implicit-def: $vgpr9_vgpr10
	s_delay_alu instid0(VALU_DEP_1)
	v_cmpx_ne_u32_e32 0, v2
	s_cbranch_execnz .LBB4_896
; %bb.894:                              ;   in Loop: Header=BB4_871 Depth=3
	s_or_b32 exec_lo, exec_lo, s14
	s_and_saveexec_b32 s14, s13
	s_cbranch_execnz .LBB4_899
.LBB4_895:                              ;   in Loop: Header=BB4_871 Depth=3
	s_or_b32 exec_lo, exec_lo, s14
	s_cbranch_execnz .LBB4_1596
	s_branch .LBB4_900
.LBB4_896:                              ;   in Loop: Header=BB4_871 Depth=3
	v_mad_u64_u32 v[64:65], null, v8, 24, v[6:7]
	s_mov_b32 s15, exec_lo
	s_delay_alu instid0(VALU_DEP_1) | instskip(NEXT) | instid1(VALU_DEP_1)
	v_mov_b32_e32 v2, v65
	v_mad_u64_u32 v[9:10], null, v3, 24, v[2:3]
	s_delay_alu instid0(VALU_DEP_1)
	v_mov_b32_e32 v65, v9
                                        ; implicit-def: $vgpr9_vgpr10
	flat_load_b32 v2, v[64:65]
	s_waitcnt vmcnt(0) lgkmcnt(0)
	v_cmp_ne_u32_e32 vcc_lo, 1, v2
	v_cmpx_eq_u32_e32 1, v2
	s_cbranch_execz .LBB4_898
; %bb.897:                              ;   in Loop: Header=BB4_871 Depth=3
	flat_load_b32 v9, v[64:65] offset:4 glc
	s_waitcnt vmcnt(0) lgkmcnt(0)
	v_ashrrev_i32_e32 v10, 31, v9
	s_delay_alu instid0(VALU_DEP_1)
	v_lshrrev_b64 v[9:10], 3, v[9:10]
.LBB4_898:                              ;   in Loop: Header=BB4_871 Depth=3
	s_or_b32 exec_lo, exec_lo, s15
	s_delay_alu instid0(SALU_CYCLE_1)
	s_or_not1_b32 s13, vcc_lo, exec_lo
	s_or_b32 exec_lo, exec_lo, s14
	s_and_saveexec_b32 s14, s13
	s_cbranch_execz .LBB4_895
.LBB4_899:                              ;   in Loop: Header=BB4_871 Depth=3
	v_mul_lo_u32 v2, v3, v81
	v_mul_lo_u32 v11, v8, v82
	v_mad_u64_u32 v[9:10], null, v8, v81, 0
	s_delay_alu instid0(VALU_DEP_1)
	v_add3_u32 v10, v10, v11, v2
	s_or_b32 exec_lo, exec_lo, s14
	s_cbranch_execnz .LBB4_1596
.LBB4_900:                              ;   in Loop: Header=BB4_871 Depth=3
	s_delay_alu instid0(VALU_DEP_1) | instskip(SKIP_2) | instid1(VALU_DEP_2)
	v_lshlrev_b64 v[8:9], 3, v[9:10]
	v_and_b32_e32 v2, 0x2000, v30
	s_mov_b32 s13, exec_lo
	v_add_co_u32 v8, vcc_lo, v24, v8
	s_delay_alu instid0(VALU_DEP_3)
	v_add_co_ci_u32_e32 v9, vcc_lo, v25, v9, vcc_lo
	ds_store_b64 v0, v[8:9]
	v_cmpx_ne_u32_e32 0, v2
	s_cbranch_execz .LBB4_902
; %bb.901:                              ;   in Loop: Header=BB4_871 Depth=3
	ds_load_b64 v[8:9], v0 offset:584
	s_waitcnt lgkmcnt(0)
	v_add_co_u32 v8, vcc_lo, v8, 1
	v_add_co_ci_u32_e32 v9, vcc_lo, 0, v9, vcc_lo
	ds_store_b64 v0, v[8:9] offset:584
.LBB4_902:                              ;   in Loop: Header=BB4_871 Depth=3
	s_or_b32 exec_lo, exec_lo, s13
	v_add_co_u32 v22, vcc_lo, v22, 2
	v_add_co_ci_u32_e32 v23, vcc_lo, 0, v23, vcc_lo
.LBB4_903:                              ;   in Loop: Header=BB4_871 Depth=3
	s_or_b32 exec_lo, exec_lo, s6
	s_and_saveexec_b32 s6, s3
	s_cbranch_execz .LBB4_925
; %bb.904:                              ;   in Loop: Header=BB4_871 Depth=3
	s_and_saveexec_b32 s13, s4
	s_delay_alu instid0(SALU_CYCLE_1)
	s_xor_b32 s13, exec_lo, s13
	s_cbranch_execz .LBB4_922
; %bb.905:                              ;   in Loop: Header=BB4_871 Depth=3
	s_and_saveexec_b32 s14, s1
	s_cbranch_execz .LBB4_921
; %bb.906:                              ;   in Loop: Header=BB4_871 Depth=3
	s_mov_b32 s20, exec_lo
	s_mov_b32 s15, exec_lo
	v_mbcnt_lo_u32_b32 v2, s20, 0
	s_waitcnt lgkmcnt(0)
	s_waitcnt_vscnt null, 0x0
	buffer_gl1_inv
	buffer_gl0_inv
	v_cmpx_eq_u32_e32 0, v2
	s_cbranch_execz .LBB4_908
; %bb.907:                              ;   in Loop: Header=BB4_871 Depth=3
	s_bcnt1_i32_b32 s20, s20
	s_delay_alu instid0(SALU_CYCLE_1)
	v_mov_b32_e32 v2, s20
	ds_add_u64 v0, v[2:3]
	s_cbranch_execnz .LBB4_1740
.LBB4_908:                              ;   in Loop: Header=BB4_871 Depth=3
	s_or_b32 exec_lo, exec_lo, s15
	s_cbranch_execnz .LBB4_1712
; %bb.909:                              ;   in Loop: Header=BB4_871 Depth=3
	ds_load_b64 v[8:9], v0
	v_add_co_u32 v12, vcc_lo, v12, v83
	v_add_co_ci_u32_e32 v13, vcc_lo, 0, v13, vcc_lo
	s_mov_b32 s15, exec_lo
	s_waitcnt lgkmcnt(0)
	s_delay_alu instid0(VALU_DEP_1)
	v_cmpx_lt_u64_e64 v[8:9], v[12:13]
	s_cbranch_execz .LBB4_920
; %bb.910:                              ;   in Loop: Header=BB4_871 Depth=3
	s_mov_b32 s20, 0
	s_mov_b32 s36, 0
                                        ; implicit-def: $sgpr28
                                        ; implicit-def: $vcc_hi
	s_branch .LBB4_912
.LBB4_911:                              ;   in Loop: Header=BB4_912 Depth=4
	s_or_b32 exec_lo, exec_lo, s38
	s_delay_alu instid0(SALU_CYCLE_1) | instskip(NEXT) | instid1(SALU_CYCLE_1)
	s_and_b32 vcc_lo, exec_lo, vcc_lo
	s_or_b32 s20, vcc_lo, s20
	s_and_not1_b32 s28, s28, exec_lo
	s_and_b32 vcc_lo, vcc_hi, exec_lo
	s_delay_alu instid0(SALU_CYCLE_1)
	s_or_b32 s28, s28, vcc_lo
	s_and_not1_b32 exec_lo, exec_lo, s20
	s_cbranch_execz .LBB4_918
.LBB4_912:                              ;   Parent Loop BB4_51 Depth=1
                                        ;     Parent Loop BB4_869 Depth=2
                                        ;       Parent Loop BB4_871 Depth=3
                                        ; =>      This Inner Loop Header: Depth=4
	s_add_i32 s36, s36, 1
                                        ; implicit-def: $sgpr38
	s_delay_alu instid0(SALU_CYCLE_1) | instskip(SKIP_1) | instid1(SALU_CYCLE_1)
	s_cmpk_lg_i32 s36, 0x2710
	s_cselect_b32 s37, -1, 0
	s_and_b32 vcc_lo, exec_lo, s37
	s_cbranch_vccz .LBB4_916
.LBB4_913:                              ;   in Loop: Header=BB4_912 Depth=4
	s_and_not1_b32 vcc_hi, vcc_hi, exec_lo
	s_and_b32 s38, s38, exec_lo
	s_mov_b32 vcc_lo, -1
	s_or_b32 vcc_hi, vcc_hi, s38
	s_and_saveexec_b32 s38, s37
	s_cbranch_execz .LBB4_911
; %bb.914:                              ;   in Loop: Header=BB4_912 Depth=4
	s_sleep 1
	s_cbranch_execnz .LBB4_1792
; %bb.915:                              ;   in Loop: Header=BB4_912 Depth=4
	ds_load_b64 v[8:9], v0
	s_waitcnt lgkmcnt(0)
	v_cmp_ge_u64_e32 vcc_lo, v[8:9], v[12:13]
	s_and_not1_b32 vcc_hi, vcc_hi, exec_lo
	s_or_not1_b32 vcc_lo, vcc_lo, exec_lo
	s_branch .LBB4_911
.LBB4_916:                              ;   in Loop: Header=BB4_912 Depth=4
	s_cbranch_execnz .LBB4_1812
; %bb.917:                              ;   in Loop: Header=BB4_912 Depth=4
	ds_load_b64 v[8:9], v0
	s_and_not1_b32 s37, s37, exec_lo
	s_mov_b32 s36, 0
	s_mov_b32 s38, -1
	s_waitcnt lgkmcnt(0)
	flat_load_b32 v2, v[8:9] glc
	s_waitcnt vmcnt(0) lgkmcnt(0)
	buffer_gl1_inv
	buffer_gl0_inv
	v_cmp_eq_u32_e32 vcc_lo, 0, v2
	s_and_b32 vcc_lo, vcc_lo, exec_lo
	s_delay_alu instid0(SALU_CYCLE_1)
	s_or_b32 s37, s37, vcc_lo
	s_branch .LBB4_913
.LBB4_918:                              ;   in Loop: Header=BB4_871 Depth=3
	s_or_b32 exec_lo, exec_lo, s20
	s_and_saveexec_b32 s20, s28
	s_delay_alu instid0(SALU_CYCLE_1)
	s_xor_b32 s20, exec_lo, s20
	s_cbranch_execz .LBB4_920
; %bb.919:                              ;   in Loop: Header=BB4_871 Depth=3
	ds_store_b32 v0, v128
	s_cbranch_execnz .LBB4_1926
.LBB4_920:                              ;   in Loop: Header=BB4_871 Depth=3
	s_or_b32 exec_lo, exec_lo, s15
	;;#ASMSTART
	s_wakeup
	;;#ASMEND
.LBB4_921:                              ;   in Loop: Header=BB4_871 Depth=3
	s_or_b32 exec_lo, exec_lo, s14
.LBB4_922:                              ;   in Loop: Header=BB4_871 Depth=3
	s_and_not1_saveexec_b32 s13, s13
	s_cbranch_execz .LBB4_924
; %bb.923:                              ;   in Loop: Header=BB4_871 Depth=3
	s_waitcnt lgkmcnt(0)
	s_waitcnt_vscnt null, 0x0
	buffer_gl1_inv
	buffer_gl0_inv
	s_barrier
.LBB4_924:                              ;   in Loop: Header=BB4_871 Depth=3
	s_or_b32 exec_lo, exec_lo, s13
.LBB4_925:                              ;   in Loop: Header=BB4_871 Depth=3
	s_delay_alu instid0(SALU_CYCLE_1)
	s_or_b32 exec_lo, exec_lo, s6
	s_cbranch_execnz .LBB4_1578
; %bb.926:                              ;   in Loop: Header=BB4_871 Depth=3
	ds_load_b32 v8, v0
	v_and_b32_e32 v2, 0x4000, v30
	s_xor_b32 s6, s2, -1
	s_delay_alu instid0(VALU_DEP_1) | instskip(SKIP_1) | instid1(SALU_CYCLE_1)
	v_cmp_ne_u32_e32 vcc_lo, 0, v2
	s_and_b32 s13, s6, vcc_lo
	s_and_saveexec_b32 s6, s13
	s_cbranch_execz .LBB4_948
; %bb.927:                              ;   in Loop: Header=BB4_871 Depth=3
	s_and_saveexec_b32 s13, s4
	s_delay_alu instid0(SALU_CYCLE_1)
	s_xor_b32 s13, exec_lo, s13
	s_cbranch_execz .LBB4_945
; %bb.928:                              ;   in Loop: Header=BB4_871 Depth=3
	s_and_saveexec_b32 s14, s1
	s_cbranch_execz .LBB4_944
; %bb.929:                              ;   in Loop: Header=BB4_871 Depth=3
	s_mov_b32 s20, exec_lo
	s_mov_b32 s15, exec_lo
	v_mbcnt_lo_u32_b32 v2, s20, 0
	s_waitcnt lgkmcnt(0)
	s_waitcnt_vscnt null, 0x0
	buffer_gl1_inv
	buffer_gl0_inv
	v_cmpx_eq_u32_e32 0, v2
	s_cbranch_execz .LBB4_931
; %bb.930:                              ;   in Loop: Header=BB4_871 Depth=3
	s_bcnt1_i32_b32 s20, s20
	s_delay_alu instid0(SALU_CYCLE_1)
	v_mov_b32_e32 v2, s20
	ds_add_u64 v0, v[2:3]
	s_cbranch_execnz .LBB4_1782
.LBB4_931:                              ;   in Loop: Header=BB4_871 Depth=3
	s_or_b32 exec_lo, exec_lo, s15
	s_cbranch_execnz .LBB4_1762
; %bb.932:                              ;   in Loop: Header=BB4_871 Depth=3
	ds_load_b64 v[9:10], v0
	v_add_co_u32 v12, vcc_lo, v12, v83
	v_add_co_ci_u32_e32 v13, vcc_lo, 0, v13, vcc_lo
	s_mov_b32 s15, exec_lo
	s_waitcnt lgkmcnt(0)
	s_delay_alu instid0(VALU_DEP_1)
	v_cmpx_lt_u64_e64 v[9:10], v[12:13]
	s_cbranch_execz .LBB4_943
; %bb.933:                              ;   in Loop: Header=BB4_871 Depth=3
	s_mov_b32 s20, 0
	s_mov_b32 s36, 0
                                        ; implicit-def: $sgpr28
                                        ; implicit-def: $vcc_hi
	s_branch .LBB4_935
.LBB4_934:                              ;   in Loop: Header=BB4_935 Depth=4
	s_or_b32 exec_lo, exec_lo, s38
	s_delay_alu instid0(SALU_CYCLE_1) | instskip(NEXT) | instid1(SALU_CYCLE_1)
	s_and_b32 vcc_lo, exec_lo, vcc_lo
	s_or_b32 s20, vcc_lo, s20
	s_and_not1_b32 s28, s28, exec_lo
	s_and_b32 vcc_lo, vcc_hi, exec_lo
	s_delay_alu instid0(SALU_CYCLE_1)
	s_or_b32 s28, s28, vcc_lo
	s_and_not1_b32 exec_lo, exec_lo, s20
	s_cbranch_execz .LBB4_941
.LBB4_935:                              ;   Parent Loop BB4_51 Depth=1
                                        ;     Parent Loop BB4_869 Depth=2
                                        ;       Parent Loop BB4_871 Depth=3
                                        ; =>      This Inner Loop Header: Depth=4
	s_add_i32 s36, s36, 1
                                        ; implicit-def: $sgpr38
	s_delay_alu instid0(SALU_CYCLE_1) | instskip(SKIP_1) | instid1(SALU_CYCLE_1)
	s_cmpk_lg_i32 s36, 0x2710
	s_cselect_b32 s37, -1, 0
	s_and_b32 vcc_lo, exec_lo, s37
	s_cbranch_vccz .LBB4_939
.LBB4_936:                              ;   in Loop: Header=BB4_935 Depth=4
	s_and_not1_b32 vcc_hi, vcc_hi, exec_lo
	s_and_b32 s38, s38, exec_lo
	s_mov_b32 vcc_lo, -1
	s_or_b32 vcc_hi, vcc_hi, s38
	s_and_saveexec_b32 s38, s37
	s_cbranch_execz .LBB4_934
; %bb.937:                              ;   in Loop: Header=BB4_935 Depth=4
	s_sleep 1
	s_cbranch_execnz .LBB4_1850
; %bb.938:                              ;   in Loop: Header=BB4_935 Depth=4
	ds_load_b64 v[9:10], v0
	s_waitcnt lgkmcnt(0)
	v_cmp_ge_u64_e32 vcc_lo, v[9:10], v[12:13]
	s_and_not1_b32 vcc_hi, vcc_hi, exec_lo
	s_or_not1_b32 vcc_lo, vcc_lo, exec_lo
	s_branch .LBB4_934
.LBB4_939:                              ;   in Loop: Header=BB4_935 Depth=4
	s_cbranch_execnz .LBB4_1858
; %bb.940:                              ;   in Loop: Header=BB4_935 Depth=4
	ds_load_b64 v[9:10], v0
	s_and_not1_b32 s37, s37, exec_lo
	s_mov_b32 s36, 0
	s_mov_b32 s38, -1
	s_waitcnt lgkmcnt(0)
	flat_load_b32 v2, v[9:10] glc
	s_waitcnt vmcnt(0) lgkmcnt(0)
	buffer_gl1_inv
	buffer_gl0_inv
	v_cmp_eq_u32_e32 vcc_lo, 0, v2
	s_and_b32 vcc_lo, vcc_lo, exec_lo
	s_delay_alu instid0(SALU_CYCLE_1)
	s_or_b32 s37, s37, vcc_lo
	s_branch .LBB4_936
.LBB4_941:                              ;   in Loop: Header=BB4_871 Depth=3
	s_or_b32 exec_lo, exec_lo, s20
	s_and_saveexec_b32 s20, s28
	s_delay_alu instid0(SALU_CYCLE_1)
	s_xor_b32 s20, exec_lo, s20
	s_cbranch_execz .LBB4_943
; %bb.942:                              ;   in Loop: Header=BB4_871 Depth=3
	ds_store_b32 v0, v128
	s_cbranch_execnz .LBB4_1942
.LBB4_943:                              ;   in Loop: Header=BB4_871 Depth=3
	s_or_b32 exec_lo, exec_lo, s15
	;;#ASMSTART
	s_wakeup
	;;#ASMEND
.LBB4_944:                              ;   in Loop: Header=BB4_871 Depth=3
	s_or_b32 exec_lo, exec_lo, s14
.LBB4_945:                              ;   in Loop: Header=BB4_871 Depth=3
	s_and_not1_saveexec_b32 s13, s13
	s_cbranch_execz .LBB4_947
; %bb.946:                              ;   in Loop: Header=BB4_871 Depth=3
	s_waitcnt lgkmcnt(0)
	s_waitcnt_vscnt null, 0x0
	buffer_gl1_inv
	buffer_gl0_inv
	s_barrier
.LBB4_947:                              ;   in Loop: Header=BB4_871 Depth=3
	s_or_b32 exec_lo, exec_lo, s13
.LBB4_948:                              ;   in Loop: Header=BB4_871 Depth=3
	s_delay_alu instid0(SALU_CYCLE_1)
	s_or_b32 exec_lo, exec_lo, s6
	s_cbranch_execnz .LBB4_1636
; %bb.949:                              ;   in Loop: Header=BB4_871 Depth=3
	ds_load_b64 v[9:10], v0
	v_mov_b32_e32 v51, 0
	s_waitcnt lgkmcnt(0)
	v_cmp_eq_u64_e32 vcc_lo, 0, v[9:10]
	s_or_b32 s6, vcc_lo, vcc_lo
	s_delay_alu instid0(SALU_CYCLE_1)
	s_and_b32 vcc_lo, exec_lo, s6
	s_cbranch_vccnz .LBB4_1024
; %bb.950:                              ;   in Loop: Header=BB4_871 Depth=3
	v_cmp_eq_u32_e32 vcc_lo, 0, v8
	s_cbranch_execnz .LBB4_1702
; %bb.951:                              ;   in Loop: Header=BB4_871 Depth=3
	ds_load_b64 v[8:9], v0
	v_cndmask_b32_e32 v51, 0, v50, vcc_lo
	s_mov_b32 s6, -1
	s_delay_alu instid0(VALU_DEP_1)
	v_lshlrev_b32_e32 v2, 3, v51
	s_waitcnt lgkmcnt(0)
	v_cmp_ne_u64_e32 vcc_lo, 0, v[8:9]
	s_cbranch_vccz .LBB4_989
; %bb.952:                              ;   in Loop: Header=BB4_871 Depth=3
	s_mov_b32 s13, exec_lo
	v_readlane_b32 s14, v42, 3
	s_delay_alu instid0(VALU_DEP_1) | instskip(NEXT) | instid1(SALU_CYCLE_1)
	s_and_b32 s14, s13, s14
	s_mov_b32 exec_lo, s14
	s_cbranch_execz .LBB4_954
; %bb.953:                              ;   in Loop: Header=BB4_871 Depth=3
	ds_load_b32 v8, v0 offset:720
	s_waitcnt lgkmcnt(0)
	v_and_b32_e32 v8, 15, v8
	s_delay_alu instid0(VALU_DEP_1)
	v_cmp_eq_u32_e32 vcc_lo, 0, v8
	s_or_not1_b32 s6, vcc_lo, exec_lo
.LBB4_954:                              ;   in Loop: Header=BB4_871 Depth=3
	s_or_b32 exec_lo, exec_lo, s13
	s_and_saveexec_b32 s13, s12
	s_cbranch_execz .LBB4_956
; %bb.955:                              ;   in Loop: Header=BB4_871 Depth=3
	ds_load_b32 v8, v0 offset:784
	s_waitcnt lgkmcnt(0)
	v_and_b32_e32 v8, 15, v8
	s_delay_alu instid0(VALU_DEP_1) | instskip(SKIP_3) | instid1(SALU_CYCLE_1)
	v_cmp_eq_u32_e32 vcc_lo, 0, v8
	s_and_b32 s14, s6, vcc_lo
	s_and_not1_b32 s6, s6, exec_lo
	s_and_b32 s14, s14, exec_lo
	s_or_b32 s6, s6, s14
.LBB4_956:                              ;   in Loop: Header=BB4_871 Depth=3
	s_or_b32 exec_lo, exec_lo, s13
	s_xor_b32 s6, s6, -1
	v_mov_b32_e32 v53, 0
	v_cndmask_b32_e64 v8, 0, 1, s6
	;;#ASMSTART
	;;#ASMEND
	s_delay_alu instid0(VALU_DEP_1)
	v_cmp_ne_u32_e32 vcc_lo, 0, v8
	v_dual_mov_b32 v8, v84 :: v_dual_mov_b32 v67, v2
	v_mov_b32_e32 v69, v0
	s_mov_b32 s13, -1
	s_cbranch_vccnz .LBB4_974
; %bb.957:                              ;   in Loop: Header=BB4_871 Depth=3
	v_ashrrev_i32_e32 v8, 31, v2
	s_mov_b32 s6, exec_lo
	s_delay_alu instid0(VALU_DEP_1) | instskip(NEXT) | instid1(VALU_DEP_1)
	v_lshrrev_b32_e32 v8, 22, v8
	v_add_nc_u32_e32 v8, v2, v8
	s_delay_alu instid0(VALU_DEP_1) | instskip(NEXT) | instid1(VALU_DEP_1)
	v_ashrrev_i32_e32 v53, 10, v8
	v_sub_nc_u32_e32 v70, v53, v84
	s_delay_alu instid0(VALU_DEP_1)
	v_cmpx_lt_i32_e32 0, v70
	s_cbranch_execz .LBB4_962
; %bb.958:                              ;   in Loop: Header=BB4_871 Depth=3
	s_cbranch_execnz .LBB4_1872
; %bb.959:                              ;   in Loop: Header=BB4_871 Depth=3
	ds_load_b64 v[8:9], v0
	ds_load_b128 v[129:132], v0
	s_mov_b32 s14, 0
	s_waitcnt lgkmcnt(1)
	v_add_co_u32 v8, vcc_lo, v8, v116
	v_add_co_ci_u32_e32 v9, vcc_lo, v9, v117, vcc_lo
	s_waitcnt lgkmcnt(0)
	v_add_co_u32 v10, vcc_lo, v129, v116
	v_add_co_ci_u32_e32 v11, vcc_lo, v130, v117, vcc_lo
	v_add_co_u32 v64, vcc_lo, v131, v116
	v_add_co_ci_u32_e32 v65, vcc_lo, v132, v117, vcc_lo
.LBB4_960:                              ;   Parent Loop BB4_51 Depth=1
                                        ;     Parent Loop BB4_869 Depth=2
                                        ;       Parent Loop BB4_871 Depth=3
                                        ; =>      This Inner Loop Header: Depth=4
	s_clause 0x1
	global_load_b128 v[129:132], v[8:9], off slc dlc
	global_load_b128 v[144:147], v[8:9], off offset:512 slc dlc
	v_sub_nc_u32_e32 v70, v70, v83
	v_add_co_u32 v8, vcc_lo, v8, v118
	v_add_co_ci_u32_e32 v9, vcc_lo, v9, v119, vcc_lo
	s_delay_alu instid0(VALU_DEP_3)
	v_cmp_gt_i32_e32 vcc_lo, 1, v70
	s_waitcnt vmcnt(1)
	global_store_b128 v[10:11], v[129:132], off glc slc dlc
	s_waitcnt vmcnt(0)
	global_store_b128 v[10:11], v[144:147], off offset:512 glc slc dlc
	s_clause 0x1
	global_store_b128 v[64:65], v[129:132], off glc slc dlc
	global_store_b128 v[64:65], v[144:147], off offset:512 glc slc dlc
	v_add_co_u32 v10, s13, v10, v118
	s_delay_alu instid0(VALU_DEP_1) | instskip(SKIP_1) | instid1(VALU_DEP_1)
	v_add_co_ci_u32_e64 v11, s13, v11, v119, s13
	v_add_co_u32 v64, s13, v64, v118
	v_add_co_ci_u32_e64 v65, s13, v65, v119, s13
	s_or_b32 s14, vcc_lo, s14
	s_delay_alu instid0(SALU_CYCLE_1)
	s_and_not1_b32 exec_lo, exec_lo, s14
	s_cbranch_execnz .LBB4_960
; %bb.961:                              ;   in Loop: Header=BB4_871 Depth=3
	s_or_b32 exec_lo, exec_lo, s14
.LBB4_962:                              ;   in Loop: Header=BB4_871 Depth=3
	s_delay_alu instid0(SALU_CYCLE_1) | instskip(SKIP_3) | instid1(VALU_DEP_1)
	s_or_b32 exec_lo, exec_lo, s6
	v_dual_mov_b32 v53, 0 :: v_dual_lshlrev_b32 v68, 10, v53
	s_mov_b32 s13, 0
	s_mov_b32 s6, exec_lo
                                        ; implicit-def: $vgpr67
                                        ; implicit-def: $vgpr69
                                        ; implicit-def: $vgpr8
	v_cmpx_ne_u32_e64 v2, v68
	s_cbranch_execz .LBB4_973
; %bb.963:                              ;   in Loop: Header=BB4_871 Depth=3
	v_lshlrev_b32_e32 v8, 5, v70
	v_sub_nc_u32_e32 v10, v2, v68
	s_mov_b32 s20, exec_lo
	s_delay_alu instid0(VALU_DEP_2) | instskip(NEXT) | instid1(VALU_DEP_2)
	v_sub_nc_u32_e32 v8, v85, v8
	v_ashrrev_i32_e32 v11, 31, v10
	s_delay_alu instid0(VALU_DEP_2) | instskip(NEXT) | instid1(VALU_DEP_2)
	v_ashrrev_i32_e32 v9, 31, v8
	v_lshrrev_b32_e32 v11, 23, v11
	s_delay_alu instid0(VALU_DEP_2) | instskip(NEXT) | instid1(VALU_DEP_2)
	v_lshrrev_b32_e32 v9, 27, v9
	v_add_nc_u32_e32 v11, v10, v11
	s_delay_alu instid0(VALU_DEP_2) | instskip(NEXT) | instid1(VALU_DEP_2)
	v_add_nc_u32_e32 v9, v8, v9
	v_and_b32_e32 v70, 0xfffffe00, v11
	v_ashrrev_i32_e32 v11, 9, v11
	s_delay_alu instid0(VALU_DEP_3) | instskip(NEXT) | instid1(VALU_DEP_3)
	v_and_b32_e32 v53, 0xffffffe0, v9
	v_sub_nc_u32_e32 v129, v10, v70
	v_ashrrev_i32_e32 v9, 5, v9
	s_delay_alu instid0(VALU_DEP_3) | instskip(NEXT) | instid1(VALU_DEP_3)
	v_sub_nc_u32_e32 v71, v8, v53
	v_cmp_lt_i32_e64 s13, 15, v129
	s_delay_alu instid0(VALU_DEP_2) | instskip(NEXT) | instid1(VALU_DEP_2)
	v_lshlrev_b32_e32 v8, 4, v71
	v_add_co_ci_u32_e64 v11, vcc_lo, 0, v11, s13
	s_delay_alu instid0(VALU_DEP_2) | instskip(NEXT) | instid1(VALU_DEP_2)
	v_lshl_add_u32 v8, v9, 9, v8
	v_sub_nc_u32_e32 v130, v11, v9
	s_delay_alu instid0(VALU_DEP_2) | instskip(NEXT) | instid1(VALU_DEP_1)
	v_sub_nc_u32_e32 v53, v10, v8
	v_cmpx_lt_i32_e32 15, v53
	s_cbranch_execz .LBB4_970
; %bb.964:                              ;   in Loop: Header=BB4_871 Depth=3
	s_cbranch_execnz .LBB4_1910
; %bb.965:                              ;   in Loop: Header=BB4_871 Depth=3
	ds_load_b64 v[9:10], v0
	ds_load_b128 v[131:134], v0
	v_add_nc_u32_e32 v8, v8, v68
	s_mov_b32 s28, 0
	s_delay_alu instid0(VALU_DEP_1) | instskip(SKIP_2) | instid1(VALU_DEP_2)
	v_ashrrev_i32_e32 v11, 31, v8
	s_waitcnt lgkmcnt(1)
	v_add_co_u32 v64, vcc_lo, v9, v8
	v_add_co_ci_u32_e32 v65, vcc_lo, v10, v11, vcc_lo
	s_waitcnt lgkmcnt(0)
	v_add_co_u32 v67, vcc_lo, v131, v8
	v_add_co_ci_u32_e32 v69, vcc_lo, v132, v11, vcc_lo
	v_add_co_u32 v131, vcc_lo, v133, v8
	v_add_co_ci_u32_e32 v132, vcc_lo, v134, v11, vcc_lo
.LBB4_966:                              ;   Parent Loop BB4_51 Depth=1
                                        ;     Parent Loop BB4_869 Depth=2
                                        ;       Parent Loop BB4_871 Depth=3
                                        ; =>      This Loop Header: Depth=4
                                        ;           Child Loop BB4_967 Depth 5
	global_load_b128 v[8:11], v[64:65], off slc dlc
	s_mov_b64 s[14:15], 0
	s_mov_b32 vcc_hi, -1
.LBB4_967:                              ;   Parent Loop BB4_51 Depth=1
                                        ;     Parent Loop BB4_869 Depth=2
                                        ;       Parent Loop BB4_871 Depth=3
                                        ;         Parent Loop BB4_966 Depth=4
                                        ; =>        This Inner Loop Header: Depth=5
	s_cmp_eq_u32 s14, 0
	v_cndmask_b32_e64 v135, 0, 1, vcc_hi
	s_cselect_b32 vcc_lo, -1, 0
	s_cmp_eq_u32 s14, 1
	s_mov_b32 vcc_hi, 0
	s_cselect_b32 s14, -1, 0
	s_delay_alu instid0(SALU_CYCLE_1) | instskip(SKIP_1) | instid1(VALU_DEP_2)
	v_cndmask_b32_e64 v133, v67, v131, s14
	v_cndmask_b32_e64 v134, v69, v132, s14
	v_add_co_u32 v144, s15, 0x200, v133
	s_delay_alu instid0(VALU_DEP_1) | instskip(SKIP_1) | instid1(VALU_DEP_3)
	v_add_co_ci_u32_e64 v145, s15, 0, v134, s15
	v_cmp_ne_u32_e64 s15, 1, v135
	v_cndmask_b32_e64 v131, v131, v144, s14
	v_cndmask_b32_e32 v67, v67, v144, vcc_lo
	s_delay_alu instid0(VALU_DEP_4)
	v_cndmask_b32_e64 v132, v132, v145, s14
	v_cndmask_b32_e32 v69, v69, v145, vcc_lo
	s_and_b32 vcc_lo, exec_lo, s15
	s_mov_b64 s[14:15], 1
	s_waitcnt vmcnt(0)
	global_store_b128 v[133:134], v[8:11], off glc slc dlc
	s_cbranch_vccz .LBB4_967
; %bb.968:                              ;   in Loop: Header=BB4_966 Depth=4
	v_add_co_u32 v67, vcc_lo, v67, v97
	v_sub_nc_u32_e32 v53, v53, v87
	v_add_co_ci_u32_e32 v69, vcc_lo, v69, v101, vcc_lo
	v_add_co_u32 v131, vcc_lo, v131, v97
	v_add_co_ci_u32_e32 v132, vcc_lo, v132, v101, vcc_lo
	s_delay_alu instid0(VALU_DEP_4) | instskip(SKIP_1) | instid1(VALU_DEP_1)
	v_cmp_gt_i32_e32 vcc_lo, 16, v53
	v_add_co_u32 v64, s14, v103, v64
	v_add_co_ci_u32_e64 v65, s14, v112, v65, s14
	v_sub_nc_u32_e32 v130, v130, v83
	s_or_b32 s28, vcc_lo, s28
	s_delay_alu instid0(SALU_CYCLE_1)
	s_and_not1_b32 exec_lo, exec_lo, s28
	s_cbranch_execnz .LBB4_966
; %bb.969:                              ;   in Loop: Header=BB4_871 Depth=3
	s_or_b32 exec_lo, exec_lo, s28
.LBB4_970:                              ;   in Loop: Header=BB4_871 Depth=3
	s_delay_alu instid0(SALU_CYCLE_1) | instskip(SKIP_4) | instid1(VALU_DEP_2)
	s_or_b32 exec_lo, exec_lo, s20
	v_and_b32_e32 v9, 8, v2
	v_mov_b32_e32 v53, 0
	s_mov_b32 s14, 0
	s_mov_b32 s15, exec_lo
                                        ; implicit-def: $vgpr69
                                        ; implicit-def: $vgpr8
	v_cndmask_b32_e64 v67, v129, v9, s13
	s_delay_alu instid0(VALU_DEP_1)
	v_cmpx_ne_u32_e32 0, v67
	s_cbranch_execz .LBB4_972
; %bb.971:                              ;   in Loop: Header=BB4_871 Depth=3
	v_cmp_lt_i32_e32 vcc_lo, 0, v130
	v_sub_nc_u32_e32 v9, v129, v9
	s_mov_b32 s14, exec_lo
	v_cndmask_b32_e32 v8, 0, v83, vcc_lo
	s_delay_alu instid0(VALU_DEP_2) | instskip(NEXT) | instid1(VALU_DEP_2)
	v_cndmask_b32_e64 v9, 0, v9, s13
	v_sub_nc_u32_e32 v8, v8, v130
	s_delay_alu instid0(VALU_DEP_2) | instskip(NEXT) | instid1(VALU_DEP_2)
	v_add3_u32 v53, v70, v68, v9
	v_lshl_add_u32 v69, v8, 5, v71
	s_delay_alu instid0(VALU_DEP_1) | instskip(NEXT) | instid1(VALU_DEP_1)
	v_ashrrev_i32_e32 v8, 31, v69
	v_lshrrev_b32_e32 v8, 27, v8
	s_delay_alu instid0(VALU_DEP_1) | instskip(NEXT) | instid1(VALU_DEP_1)
	v_add_nc_u32_e32 v8, v69, v8
	v_ashrrev_i32_e32 v8, 5, v8
.LBB4_972:                              ;   in Loop: Header=BB4_871 Depth=3
	s_or_b32 exec_lo, exec_lo, s15
	s_delay_alu instid0(SALU_CYCLE_1)
	s_and_b32 s13, s14, exec_lo
.LBB4_973:                              ;   in Loop: Header=BB4_871 Depth=3
	s_or_b32 exec_lo, exec_lo, s6
.LBB4_974:                              ;   in Loop: Header=BB4_871 Depth=3
	s_and_saveexec_b32 s6, s13
	s_cbranch_execz .LBB4_988
; %bb.975:                              ;   in Loop: Header=BB4_871 Depth=3
	v_ashrrev_i32_e32 v9, 31, v67
	s_mov_b32 s14, exec_lo
	s_delay_alu instid0(VALU_DEP_1) | instskip(NEXT) | instid1(VALU_DEP_1)
	v_lshrrev_b32_e32 v9, 23, v9
	v_add_nc_u32_e32 v9, v67, v9
	s_delay_alu instid0(VALU_DEP_1) | instskip(NEXT) | instid1(VALU_DEP_1)
	v_ashrrev_i32_e32 v70, 9, v9
	v_sub_nc_u32_e32 v68, v70, v8
	s_delay_alu instid0(VALU_DEP_1)
	v_cmpx_lt_i32_e32 0, v68
	s_cbranch_execz .LBB4_980
; %bb.976:                              ;   in Loop: Header=BB4_871 Depth=3
	s_cbranch_execnz .LBB4_1868
; %bb.977:                              ;   in Loop: Header=BB4_871 Depth=3
	v_ashrrev_i32_e32 v9, 31, v69
	v_lshlrev_b32_e32 v8, 9, v8
	s_mov_b32 s15, 0
	ds_load_b128 v[129:132], v0
	v_lshrrev_b32_e32 v9, 27, v9
	s_delay_alu instid0(VALU_DEP_1) | instskip(NEXT) | instid1(VALU_DEP_1)
	v_add_nc_u32_e32 v9, v69, v9
	v_and_b32_e32 v11, 0x1fffffe0, v9
	ds_load_b64 v[9:10], v0
	v_sub_nc_u32_e32 v11, v69, v11
	s_delay_alu instid0(VALU_DEP_1) | instskip(NEXT) | instid1(VALU_DEP_1)
	v_lshlrev_b32_e32 v11, 3, v11
	v_add3_u32 v64, v11, v53, v8
	s_delay_alu instid0(VALU_DEP_1) | instskip(SKIP_2) | instid1(VALU_DEP_2)
	v_ashrrev_i32_e32 v65, 31, v64
	s_waitcnt lgkmcnt(0)
	v_add_co_u32 v8, vcc_lo, v9, v64
	v_add_co_ci_u32_e32 v9, vcc_lo, v10, v65, vcc_lo
	v_add_co_u32 v10, vcc_lo, v129, v64
	v_add_co_ci_u32_e32 v11, vcc_lo, v130, v65, vcc_lo
	;; [unrolled: 2-line block ×3, first 2 shown]
.LBB4_978:                              ;   Parent Loop BB4_51 Depth=1
                                        ;     Parent Loop BB4_869 Depth=2
                                        ;       Parent Loop BB4_871 Depth=3
                                        ; =>      This Inner Loop Header: Depth=4
	s_clause 0x1
	flat_load_b64 v[129:130], v[8:9] slc dlc
	flat_load_b64 v[131:132], v[8:9] offset:256 slc dlc
	v_sub_nc_u32_e32 v68, v68, v83
	v_add_co_u32 v8, vcc_lo, v8, v103
	v_add_co_ci_u32_e32 v9, vcc_lo, v9, v112, vcc_lo
	s_delay_alu instid0(VALU_DEP_3)
	v_cmp_gt_i32_e32 vcc_lo, 1, v68
	s_waitcnt vmcnt(1) lgkmcnt(1)
	flat_store_b64 v[10:11], v[129:130] glc slc dlc
	s_waitcnt vmcnt(0) lgkmcnt(1)
	flat_store_b64 v[10:11], v[131:132] offset:256 glc slc dlc
	s_clause 0x1
	flat_store_b64 v[64:65], v[129:130] glc slc dlc
	flat_store_b64 v[64:65], v[131:132] offset:256 glc slc dlc
	v_add_co_u32 v10, s13, v10, v103
	s_delay_alu instid0(VALU_DEP_1) | instskip(SKIP_1) | instid1(VALU_DEP_1)
	v_add_co_ci_u32_e64 v11, s13, v11, v112, s13
	v_add_co_u32 v64, s13, v64, v103
	v_add_co_ci_u32_e64 v65, s13, v65, v112, s13
	s_or_b32 s15, vcc_lo, s15
	s_delay_alu instid0(SALU_CYCLE_1)
	s_and_not1_b32 exec_lo, exec_lo, s15
	s_cbranch_execnz .LBB4_978
; %bb.979:                              ;   in Loop: Header=BB4_871 Depth=3
	s_or_b32 exec_lo, exec_lo, s15
.LBB4_980:                              ;   in Loop: Header=BB4_871 Depth=3
	s_delay_alu instid0(SALU_CYCLE_1) | instskip(SKIP_2) | instid1(VALU_DEP_1)
	s_or_b32 exec_lo, exec_lo, s14
	v_lshlrev_b32_e32 v8, 9, v70
	s_mov_b32 s20, exec_lo
	v_cmpx_ne_u32_e64 v67, v8
	s_cbranch_execz .LBB4_987
; %bb.981:                              ;   in Loop: Header=BB4_871 Depth=3
	v_ashrrev_i32_e32 v9, 31, v69
	v_lshlrev_b32_e32 v10, 5, v68
	s_delay_alu instid0(VALU_DEP_2) | instskip(NEXT) | instid1(VALU_DEP_1)
	v_lshrrev_b32_e32 v9, 27, v9
	v_add_nc_u32_e32 v9, v69, v9
	s_delay_alu instid0(VALU_DEP_1) | instskip(NEXT) | instid1(VALU_DEP_1)
	v_and_b32_e32 v9, 0xffffffe0, v9
	v_sub_nc_u32_e32 v9, v69, v9
	s_delay_alu instid0(VALU_DEP_1) | instskip(NEXT) | instid1(VALU_DEP_1)
	v_sub_nc_u32_e32 v9, v9, v10
	v_ashrrev_i32_e32 v10, 31, v9
	s_delay_alu instid0(VALU_DEP_1) | instskip(NEXT) | instid1(VALU_DEP_1)
	v_lshrrev_b32_e32 v10, 27, v10
	v_add_nc_u32_e32 v10, v9, v10
	s_delay_alu instid0(VALU_DEP_1) | instskip(SKIP_1) | instid1(VALU_DEP_2)
	v_and_b32_e32 v11, 0x1fffffe0, v10
	v_lshlrev_b32_e32 v10, 3, v10
	v_sub_nc_u32_e32 v9, v9, v11
	s_delay_alu instid0(VALU_DEP_2) | instskip(NEXT) | instid1(VALU_DEP_2)
	v_and_b32_e32 v10, 0xffffff00, v10
	v_lshlrev_b32_e32 v9, 3, v9
	s_delay_alu instid0(VALU_DEP_1) | instskip(NEXT) | instid1(VALU_DEP_1)
	v_add3_u32 v8, v10, v9, v8
	v_sub_nc_u32_e32 v64, v67, v8
	s_delay_alu instid0(VALU_DEP_1)
	v_cmp_lt_i32_e32 vcc_lo, 7, v64
	s_and_b32 exec_lo, exec_lo, vcc_lo
	s_cbranch_execz .LBB4_987
; %bb.982:                              ;   in Loop: Header=BB4_871 Depth=3
	s_cbranch_execnz .LBB4_1904
; %bb.983:                              ;   in Loop: Header=BB4_871 Depth=3
	ds_load_b64 v[9:10], v0
	ds_load_b128 v[67:70], v0
	v_add_nc_u32_e32 v11, v8, v53
	s_mov_b32 s28, 0
	s_delay_alu instid0(VALU_DEP_1) | instskip(SKIP_2) | instid1(VALU_DEP_2)
	v_ashrrev_i32_e32 v71, 31, v11
	s_waitcnt lgkmcnt(1)
	v_add_co_u32 v8, vcc_lo, v9, v11
	v_add_co_ci_u32_e32 v9, vcc_lo, v10, v71, vcc_lo
	s_waitcnt lgkmcnt(0)
	v_add_co_u32 v53, vcc_lo, v67, v11
	v_add_co_ci_u32_e32 v65, vcc_lo, v68, v71, vcc_lo
	v_add_co_u32 v67, vcc_lo, v69, v11
	v_add_co_ci_u32_e32 v68, vcc_lo, v70, v71, vcc_lo
	s_set_inst_prefetch_distance 0x1
.LBB4_984:                              ;   Parent Loop BB4_51 Depth=1
                                        ;     Parent Loop BB4_869 Depth=2
                                        ;       Parent Loop BB4_871 Depth=3
                                        ; =>      This Loop Header: Depth=4
                                        ;           Child Loop BB4_985 Depth 5
	flat_load_b64 v[10:11], v[8:9] slc dlc
	s_mov_b64 s[14:15], 0
	s_mov_b32 s13, -1
.LBB4_985:                              ;   Parent Loop BB4_51 Depth=1
                                        ;     Parent Loop BB4_869 Depth=2
                                        ;       Parent Loop BB4_871 Depth=3
                                        ;         Parent Loop BB4_984 Depth=4
                                        ; =>        This Inner Loop Header: Depth=5
	s_cmp_eq_u32 s14, 0
	v_cndmask_b32_e64 v71, 0, 1, s13
	s_cselect_b32 vcc_lo, -1, 0
	s_cmp_eq_u32 s14, 1
	s_cselect_b32 s13, -1, 0
	s_delay_alu instid0(SALU_CYCLE_1) | instskip(SKIP_1) | instid1(VALU_DEP_2)
	v_cndmask_b32_e64 v69, v53, v67, s13
	v_cndmask_b32_e64 v70, v65, v68, s13
	v_add_co_u32 v129, s14, 0x100, v69
	s_delay_alu instid0(VALU_DEP_1) | instskip(SKIP_1) | instid1(VALU_DEP_3)
	v_add_co_ci_u32_e64 v130, s14, 0, v70, s14
	v_cmp_ne_u32_e64 s14, 1, v71
	v_cndmask_b32_e64 v67, v67, v129, s13
	v_cndmask_b32_e32 v53, v53, v129, vcc_lo
	s_delay_alu instid0(VALU_DEP_4)
	v_cndmask_b32_e64 v68, v68, v130, s13
	v_cndmask_b32_e32 v65, v65, v130, vcc_lo
	s_mov_b32 s13, 0
	s_and_b32 vcc_lo, exec_lo, s14
	s_mov_b64 s[14:15], 1
	s_waitcnt vmcnt(0) lgkmcnt(0)
	flat_store_b64 v[69:70], v[10:11] glc slc dlc
	s_cbranch_vccz .LBB4_985
; %bb.986:                              ;   in Loop: Header=BB4_984 Depth=4
	v_add_co_u32 v53, vcc_lo, v53, v102
	v_sub_nc_u32_e32 v64, v64, v98
	v_add_co_ci_u32_e32 v65, vcc_lo, v65, v113, vcc_lo
	v_add_co_u32 v67, vcc_lo, v67, v102
	v_add_co_ci_u32_e32 v68, vcc_lo, v68, v113, vcc_lo
	s_delay_alu instid0(VALU_DEP_4) | instskip(SKIP_1) | instid1(VALU_DEP_1)
	v_cmp_gt_i32_e32 vcc_lo, 8, v64
	v_add_co_u32 v8, s13, v114, v8
	v_add_co_ci_u32_e64 v9, s13, v115, v9, s13
	s_or_b32 s28, vcc_lo, s28
	s_delay_alu instid0(SALU_CYCLE_1)
	s_and_not1_b32 exec_lo, exec_lo, s28
	s_cbranch_execnz .LBB4_984
.LBB4_987:                              ;   in Loop: Header=BB4_871 Depth=3
	s_set_inst_prefetch_distance 0x2
	s_or_b32 exec_lo, exec_lo, s20
.LBB4_988:                              ;   in Loop: Header=BB4_871 Depth=3
	s_delay_alu instid0(SALU_CYCLE_1)
	s_or_b32 exec_lo, exec_lo, s6
	s_mov_b32 s6, 0
.LBB4_989:                              ;   in Loop: Header=BB4_871 Depth=3
	s_delay_alu instid0(SALU_CYCLE_1)
	s_and_b32 vcc_lo, exec_lo, s6
	s_cbranch_vccz .LBB4_1024
; %bb.990:                              ;   in Loop: Header=BB4_871 Depth=3
	s_mov_b32 s6, -1
	s_mov_b32 s13, exec_lo
	v_readlane_b32 s14, v42, 3
	s_delay_alu instid0(VALU_DEP_1) | instskip(NEXT) | instid1(SALU_CYCLE_1)
	s_and_b32 s14, s13, s14
	s_mov_b32 exec_lo, s14
	s_cbranch_execz .LBB4_992
; %bb.991:                              ;   in Loop: Header=BB4_871 Depth=3
	ds_load_b32 v8, v0 offset:720
	s_waitcnt lgkmcnt(0)
	v_and_b32_e32 v8, 15, v8
	s_delay_alu instid0(VALU_DEP_1)
	v_cmp_eq_u32_e32 vcc_lo, 0, v8
	s_or_not1_b32 s6, vcc_lo, exec_lo
.LBB4_992:                              ;   in Loop: Header=BB4_871 Depth=3
	s_or_b32 exec_lo, exec_lo, s13
	s_and_saveexec_b32 s13, s5
	s_cbranch_execz .LBB4_994
; %bb.993:                              ;   in Loop: Header=BB4_871 Depth=3
	ds_load_b32 v8, v0 offset:784
	s_waitcnt lgkmcnt(0)
	v_and_b32_e32 v8, 15, v8
	s_delay_alu instid0(VALU_DEP_1) | instskip(SKIP_3) | instid1(SALU_CYCLE_1)
	v_cmp_eq_u32_e32 vcc_lo, 0, v8
	s_and_b32 s14, s6, vcc_lo
	s_and_not1_b32 s6, s6, exec_lo
	s_and_b32 s14, s14, exec_lo
	s_or_b32 s6, s6, s14
.LBB4_994:                              ;   in Loop: Header=BB4_871 Depth=3
	s_or_b32 exec_lo, exec_lo, s13
	s_xor_b32 s6, s6, -1
	v_mov_b32_e32 v10, 0
	v_cndmask_b32_e64 v8, 0, 1, s6
	;;#ASMSTART
	;;#ASMEND
	s_delay_alu instid0(VALU_DEP_1)
	v_cmp_ne_u32_e32 vcc_lo, 0, v8
	s_mov_b32 s13, -1
	s_cbranch_vccz .LBB4_996
; %bb.995:                              ;   in Loop: Header=BB4_871 Depth=3
	v_mov_b32_e32 v11, v0
	v_mov_b32_e32 v68, v84
	s_branch .LBB4_1011
.LBB4_996:                              ;   in Loop: Header=BB4_871 Depth=3
	v_ashrrev_i32_e32 v8, 31, v2
	s_mov_b32 s6, exec_lo
	s_delay_alu instid0(VALU_DEP_1) | instskip(NEXT) | instid1(VALU_DEP_1)
	v_lshrrev_b32_e32 v8, 21, v8
	v_add_nc_u32_e32 v8, v2, v8
	s_delay_alu instid0(VALU_DEP_1) | instskip(NEXT) | instid1(VALU_DEP_1)
	v_ashrrev_i32_e32 v53, 11, v8
	v_sub_nc_u32_e32 v64, v53, v84
	s_delay_alu instid0(VALU_DEP_1)
	v_cmpx_lt_i32_e32 0, v64
	s_cbranch_execz .LBB4_1001
; %bb.997:                              ;   in Loop: Header=BB4_871 Depth=3
	s_cbranch_execnz .LBB4_1888
; %bb.998:                              ;   in Loop: Header=BB4_871 Depth=3
	ds_load_b64 v[8:9], v0
	s_mov_b32 s14, 0
	s_waitcnt lgkmcnt(0)
	v_dual_mov_b32 v11, v9 :: v_dual_mov_b32 v10, v8
	s_set_inst_prefetch_distance 0x1
.LBB4_999:                              ;   Parent Loop BB4_51 Depth=1
                                        ;     Parent Loop BB4_869 Depth=2
                                        ;       Parent Loop BB4_871 Depth=3
                                        ; =>      This Inner Loop Header: Depth=4
	s_delay_alu instid0(VALU_DEP_1) | instskip(NEXT) | instid1(VALU_DEP_2)
	v_add_co_u32 v133, vcc_lo, v86, v10
	v_add_co_ci_u32_e32 v134, vcc_lo, v96, v11, vcc_lo
	v_sub_nc_u32_e32 v64, v64, v83
	s_clause 0x3
	global_load_b128 v[67:70], v[133:134], off slc dlc
	global_load_b128 v[129:132], v[133:134], off offset:512 slc dlc
	global_load_b128 v[144:147], v[133:134], off offset:1024 slc dlc
	global_load_b128 v[148:151], v[133:134], off offset:1536 slc dlc
	v_add_co_u32 v133, vcc_lo, v86, v8
	v_add_co_ci_u32_e32 v134, vcc_lo, v96, v9, vcc_lo
	v_add_co_u32 v10, vcc_lo, v10, v99
	v_add_co_ci_u32_e32 v11, vcc_lo, v11, v100, vcc_lo
	v_add_co_u32 v8, vcc_lo, v8, v99
	v_cmp_gt_i32_e64 s13, 1, v64
	v_add_co_ci_u32_e32 v9, vcc_lo, v9, v100, vcc_lo
	s_waitcnt vmcnt(3)
	global_store_b128 v[133:134], v[67:70], off glc slc dlc
	s_waitcnt vmcnt(2)
	global_store_b128 v[133:134], v[129:132], off offset:512 glc slc dlc
	s_waitcnt vmcnt(1)
	global_store_b128 v[133:134], v[144:147], off offset:1024 glc slc dlc
	;; [unrolled: 2-line block ×3, first 2 shown]
	s_or_b32 s14, s13, s14
	s_delay_alu instid0(SALU_CYCLE_1)
	s_and_not1_b32 exec_lo, exec_lo, s14
	s_cbranch_execnz .LBB4_999
; %bb.1000:                             ;   in Loop: Header=BB4_871 Depth=3
	s_set_inst_prefetch_distance 0x2
	s_or_b32 exec_lo, exec_lo, s14
.LBB4_1001:                             ;   in Loop: Header=BB4_871 Depth=3
	s_delay_alu instid0(SALU_CYCLE_1) | instskip(SKIP_3) | instid1(VALU_DEP_1)
	s_or_b32 exec_lo, exec_lo, s6
	v_dual_mov_b32 v10, 0 :: v_dual_lshlrev_b32 v53, 11, v53
	s_mov_b32 s13, 0
	s_mov_b32 s6, exec_lo
                                        ; implicit-def: $vgpr11
                                        ; implicit-def: $vgpr68
	v_cmpx_ne_u32_e64 v2, v53
	s_cbranch_execz .LBB4_1010
; %bb.1002:                             ;   in Loop: Header=BB4_871 Depth=3
	v_lshlrev_b32_e32 v8, 5, v64
	v_sub_nc_u32_e32 v10, v2, v53
	s_mov_b32 s15, exec_lo
	s_delay_alu instid0(VALU_DEP_2) | instskip(NEXT) | instid1(VALU_DEP_2)
	v_sub_nc_u32_e32 v8, v85, v8
	v_ashrrev_i32_e32 v11, 31, v10
	s_delay_alu instid0(VALU_DEP_2) | instskip(NEXT) | instid1(VALU_DEP_2)
	v_ashrrev_i32_e32 v9, 31, v8
	v_lshrrev_b32_e32 v11, 23, v11
	s_delay_alu instid0(VALU_DEP_2) | instskip(NEXT) | instid1(VALU_DEP_2)
	v_lshrrev_b32_e32 v9, 27, v9
	v_add_nc_u32_e32 v11, v10, v11
	s_delay_alu instid0(VALU_DEP_2) | instskip(NEXT) | instid1(VALU_DEP_2)
	v_add_nc_u32_e32 v9, v8, v9
	v_ashrrev_i32_e32 v68, 9, v11
	s_delay_alu instid0(VALU_DEP_2) | instskip(NEXT) | instid1(VALU_DEP_1)
	v_and_b32_e32 v64, 0xffffffe0, v9
	v_sub_nc_u32_e32 v65, v8, v64
	v_and_b32_e32 v64, 0xfffffe00, v11
	v_ashrrev_i32_e32 v8, 5, v9
	s_delay_alu instid0(VALU_DEP_3) | instskip(NEXT) | instid1(VALU_DEP_3)
	v_lshlrev_b32_e32 v9, 4, v65
	v_sub_nc_u32_e32 v67, v10, v64
	s_delay_alu instid0(VALU_DEP_2) | instskip(NEXT) | instid1(VALU_DEP_2)
	v_lshl_add_u32 v11, v8, 9, v9
	v_cmp_lt_i32_e32 vcc_lo, 15, v67
	s_delay_alu instid0(VALU_DEP_2) | instskip(SKIP_1) | instid1(VALU_DEP_1)
	v_sub_nc_u32_e32 v10, v10, v11
	v_add_co_ci_u32_e64 v9, s13, 0, v68, vcc_lo
	v_sub_nc_u32_e32 v69, v9, v8
	s_delay_alu instid0(VALU_DEP_3)
	v_cmpx_lt_i32_e32 15, v10
	s_cbranch_execz .LBB4_1007
; %bb.1003:                             ;   in Loop: Header=BB4_871 Depth=3
	s_cbranch_execnz .LBB4_1918
; %bb.1004:                             ;   in Loop: Header=BB4_871 Depth=3
	ds_load_b64 v[8:9], v0
	v_add_nc_u32_e32 v11, v11, v53
	s_mov_b32 s20, 0
	s_delay_alu instid0(VALU_DEP_1)
	v_ashrrev_i32_e32 v68, 31, v11
.LBB4_1005:                             ;   Parent Loop BB4_51 Depth=1
                                        ;     Parent Loop BB4_869 Depth=2
                                        ;       Parent Loop BB4_871 Depth=3
                                        ; =>      This Inner Loop Header: Depth=4
	s_waitcnt lgkmcnt(0)
	v_add_co_u32 v70, s13, v8, v11
	s_delay_alu instid0(VALU_DEP_1)
	v_add_co_ci_u32_e64 v71, s13, v9, v68, s13
	v_sub_nc_u32_e32 v10, v10, v87
	v_add_co_u32 v11, s14, v11, v103
	global_load_b128 v[129:132], v[70:71], off slc dlc
	v_sub_nc_u32_e32 v69, v69, v83
	v_cmp_gt_i32_e64 s13, 16, v10
	v_add_co_ci_u32_e64 v68, s14, v68, v112, s14
	s_delay_alu instid0(VALU_DEP_2)
	s_or_b32 s20, s13, s20
	s_waitcnt vmcnt(0)
	global_store_b128 v[70:71], v[129:132], off glc slc dlc
	s_and_not1_b32 exec_lo, exec_lo, s20
	s_cbranch_execnz .LBB4_1005
; %bb.1006:                             ;   in Loop: Header=BB4_871 Depth=3
	s_or_b32 exec_lo, exec_lo, s20
.LBB4_1007:                             ;   in Loop: Header=BB4_871 Depth=3
	s_delay_alu instid0(SALU_CYCLE_1) | instskip(SKIP_4) | instid1(VALU_DEP_2)
	s_or_b32 exec_lo, exec_lo, s15
	v_and_b32_e32 v8, 8, v2
	v_mov_b32_e32 v10, 0
	s_mov_b32 s14, 0
	s_mov_b32 s15, exec_lo
                                        ; implicit-def: $vgpr11
                                        ; implicit-def: $vgpr68
	v_cndmask_b32_e32 v2, v67, v8, vcc_lo
	s_delay_alu instid0(VALU_DEP_1)
	v_cmpx_ne_u32_e32 0, v2
; %bb.1008:                             ;   in Loop: Header=BB4_871 Depth=3
	v_cmp_lt_i32_e64 s13, 0, v69
	v_sub_nc_u32_e32 v8, v67, v8
	s_mov_b32 s14, exec_lo
	s_delay_alu instid0(VALU_DEP_2) | instskip(NEXT) | instid1(VALU_DEP_1)
	v_cndmask_b32_e64 v9, 0, v83, s13
	v_sub_nc_u32_e32 v9, v9, v69
	s_delay_alu instid0(VALU_DEP_1) | instskip(NEXT) | instid1(VALU_DEP_1)
	v_lshl_add_u32 v11, v9, 5, v65
	v_ashrrev_i32_e32 v9, 31, v11
	s_delay_alu instid0(VALU_DEP_1) | instskip(NEXT) | instid1(VALU_DEP_1)
	v_lshrrev_b32_e32 v9, 27, v9
	v_dual_cndmask_b32 v8, 0, v8 :: v_dual_add_nc_u32 v9, v11, v9
	s_delay_alu instid0(VALU_DEP_1) | instskip(NEXT) | instid1(VALU_DEP_2)
	v_add3_u32 v10, v64, v53, v8
	v_ashrrev_i32_e32 v68, 5, v9
; %bb.1009:                             ;   in Loop: Header=BB4_871 Depth=3
	s_or_b32 exec_lo, exec_lo, s15
	s_delay_alu instid0(SALU_CYCLE_1)
	s_and_b32 s13, s14, exec_lo
.LBB4_1010:                             ;   in Loop: Header=BB4_871 Depth=3
	s_or_b32 exec_lo, exec_lo, s6
.LBB4_1011:                             ;   in Loop: Header=BB4_871 Depth=3
	s_and_saveexec_b32 s6, s13
	s_cbranch_execz .LBB4_1023
; %bb.1012:                             ;   in Loop: Header=BB4_871 Depth=3
	v_ashrrev_i32_e32 v8, 31, v2
	s_mov_b32 s14, exec_lo
	s_delay_alu instid0(VALU_DEP_1) | instskip(NEXT) | instid1(VALU_DEP_1)
	v_lshrrev_b32_e32 v8, 23, v8
	v_add_nc_u32_e32 v8, v2, v8
	s_delay_alu instid0(VALU_DEP_1) | instskip(NEXT) | instid1(VALU_DEP_1)
	v_ashrrev_i32_e32 v64, 9, v8
	v_sub_nc_u32_e32 v53, v64, v68
	s_delay_alu instid0(VALU_DEP_1)
	v_cmpx_lt_i32_e32 0, v53
	s_cbranch_execz .LBB4_1017
; %bb.1013:                             ;   in Loop: Header=BB4_871 Depth=3
	s_cbranch_execnz .LBB4_1876
; %bb.1014:                             ;   in Loop: Header=BB4_871 Depth=3
	v_ashrrev_i32_e32 v8, 31, v11
	v_lshlrev_b32_e32 v67, 9, v68
	s_mov_b32 s15, 0
	s_delay_alu instid0(VALU_DEP_2) | instskip(NEXT) | instid1(VALU_DEP_1)
	v_lshrrev_b32_e32 v8, 27, v8
	v_add_nc_u32_e32 v8, v11, v8
	s_delay_alu instid0(VALU_DEP_1) | instskip(NEXT) | instid1(VALU_DEP_1)
	v_and_b32_e32 v8, 0x1fffffe0, v8
	v_sub_nc_u32_e32 v65, v11, v8
	ds_load_b64 v[8:9], v0
	v_lshlrev_b32_e32 v65, 3, v65
	s_delay_alu instid0(VALU_DEP_1) | instskip(NEXT) | instid1(VALU_DEP_1)
	v_add3_u32 v65, v65, v10, v67
	v_ashrrev_i32_e32 v67, 31, v65
.LBB4_1015:                             ;   Parent Loop BB4_51 Depth=1
                                        ;     Parent Loop BB4_869 Depth=2
                                        ;       Parent Loop BB4_871 Depth=3
                                        ; =>      This Inner Loop Header: Depth=4
	s_waitcnt lgkmcnt(0)
	v_add_co_u32 v68, vcc_lo, v8, v65
	s_delay_alu instid0(VALU_DEP_2)
	v_add_co_ci_u32_e32 v69, vcc_lo, v9, v67, vcc_lo
	v_sub_nc_u32_e32 v53, v53, v83
	v_add_co_u32 v65, s13, v65, v103
	s_clause 0x1
	flat_load_b64 v[70:71], v[68:69] slc dlc
	flat_load_b64 v[129:130], v[68:69] offset:256 slc dlc
	v_add_co_ci_u32_e64 v67, s13, v67, v112, s13
	v_cmp_gt_i32_e32 vcc_lo, 1, v53
	s_waitcnt vmcnt(1) lgkmcnt(1)
	flat_store_b64 v[68:69], v[70:71] glc slc dlc
	s_waitcnt vmcnt(0) lgkmcnt(1)
	flat_store_b64 v[68:69], v[129:130] offset:256 glc slc dlc
	s_or_b32 s15, vcc_lo, s15
	s_delay_alu instid0(SALU_CYCLE_1)
	s_and_not1_b32 exec_lo, exec_lo, s15
	s_cbranch_execnz .LBB4_1015
; %bb.1016:                             ;   in Loop: Header=BB4_871 Depth=3
	s_or_b32 exec_lo, exec_lo, s15
.LBB4_1017:                             ;   in Loop: Header=BB4_871 Depth=3
	s_delay_alu instid0(SALU_CYCLE_1) | instskip(SKIP_2) | instid1(VALU_DEP_1)
	s_or_b32 exec_lo, exec_lo, s14
	v_lshlrev_b32_e32 v8, 9, v64
	s_mov_b32 s14, exec_lo
	v_cmpx_ne_u32_e64 v2, v8
	s_cbranch_execz .LBB4_1022
; %bb.1018:                             ;   in Loop: Header=BB4_871 Depth=3
	v_ashrrev_i32_e32 v9, 31, v11
	s_delay_alu instid0(VALU_DEP_1) | instskip(NEXT) | instid1(VALU_DEP_1)
	v_lshrrev_b32_e32 v9, 27, v9
	v_add_nc_u32_e32 v9, v11, v9
	s_delay_alu instid0(VALU_DEP_1) | instskip(NEXT) | instid1(VALU_DEP_1)
	v_and_b32_e32 v9, 0xffffffe0, v9
	v_sub_nc_u32_e32 v9, v11, v9
	v_lshlrev_b32_e32 v11, 5, v53
	s_delay_alu instid0(VALU_DEP_1) | instskip(NEXT) | instid1(VALU_DEP_1)
	v_sub_nc_u32_e32 v9, v9, v11
	v_ashrrev_i32_e32 v11, 31, v9
	s_delay_alu instid0(VALU_DEP_1) | instskip(NEXT) | instid1(VALU_DEP_1)
	v_lshrrev_b32_e32 v11, 27, v11
	v_add_nc_u32_e32 v11, v9, v11
	s_delay_alu instid0(VALU_DEP_1) | instskip(SKIP_1) | instid1(VALU_DEP_2)
	v_and_b32_e32 v53, 0x1fffffe0, v11
	v_lshlrev_b32_e32 v11, 3, v11
	v_sub_nc_u32_e32 v9, v9, v53
	s_delay_alu instid0(VALU_DEP_2) | instskip(NEXT) | instid1(VALU_DEP_2)
	v_and_b32_e32 v11, 0xffffff00, v11
	v_lshlrev_b32_e32 v9, 3, v9
	s_delay_alu instid0(VALU_DEP_1) | instskip(NEXT) | instid1(VALU_DEP_1)
	v_add3_u32 v11, v11, v9, v8
	v_sub_nc_u32_e32 v2, v2, v11
	s_delay_alu instid0(VALU_DEP_1)
	v_cmp_lt_i32_e32 vcc_lo, 7, v2
	s_and_b32 exec_lo, exec_lo, vcc_lo
	s_cbranch_execz .LBB4_1022
; %bb.1019:                             ;   in Loop: Header=BB4_871 Depth=3
	s_cbranch_execnz .LBB4_1914
; %bb.1020:                             ;   in Loop: Header=BB4_871 Depth=3
	ds_load_b64 v[8:9], v0
	v_add_nc_u32_e32 v10, v11, v10
	s_mov_b32 s15, 0
	s_delay_alu instid0(VALU_DEP_1)
	v_ashrrev_i32_e32 v11, 31, v10
.LBB4_1021:                             ;   Parent Loop BB4_51 Depth=1
                                        ;     Parent Loop BB4_869 Depth=2
                                        ;       Parent Loop BB4_871 Depth=3
                                        ; =>      This Inner Loop Header: Depth=4
	s_waitcnt lgkmcnt(0)
	v_add_co_u32 v64, vcc_lo, v8, v10
	s_delay_alu instid0(VALU_DEP_2)
	v_add_co_ci_u32_e32 v65, vcc_lo, v9, v11, vcc_lo
	v_sub_nc_u32_e32 v2, v2, v98
	v_add_co_u32 v10, s13, v10, v114
	flat_load_b64 v[67:68], v[64:65] slc dlc
	v_add_co_ci_u32_e64 v11, s13, v11, v115, s13
	v_cmp_gt_i32_e32 vcc_lo, 8, v2
	s_or_b32 s15, vcc_lo, s15
	s_waitcnt vmcnt(0) lgkmcnt(0)
	flat_store_b64 v[64:65], v[67:68] glc slc dlc
	s_and_not1_b32 exec_lo, exec_lo, s15
	s_cbranch_execnz .LBB4_1021
.LBB4_1022:                             ;   in Loop: Header=BB4_871 Depth=3
	s_or_b32 exec_lo, exec_lo, s14
.LBB4_1023:                             ;   in Loop: Header=BB4_871 Depth=3
	s_delay_alu instid0(SALU_CYCLE_1)
	s_or_b32 exec_lo, exec_lo, s6
.LBB4_1024:                             ;   in Loop: Header=BB4_871 Depth=3
	s_and_saveexec_b32 s6, s3
	s_cbranch_execz .LBB4_1046
; %bb.1025:                             ;   in Loop: Header=BB4_871 Depth=3
	s_and_saveexec_b32 s13, s4
	s_delay_alu instid0(SALU_CYCLE_1)
	s_xor_b32 s13, exec_lo, s13
	s_cbranch_execz .LBB4_1043
; %bb.1026:                             ;   in Loop: Header=BB4_871 Depth=3
	s_and_saveexec_b32 s14, s1
	s_cbranch_execz .LBB4_1042
; %bb.1027:                             ;   in Loop: Header=BB4_871 Depth=3
	s_mov_b32 s20, exec_lo
	s_mov_b32 s15, exec_lo
	v_mbcnt_lo_u32_b32 v2, s20, 0
	s_waitcnt lgkmcnt(0)
	s_waitcnt_vscnt null, 0x0
	buffer_gl1_inv
	buffer_gl0_inv
	v_cmpx_eq_u32_e32 0, v2
	s_cbranch_execz .LBB4_1029
; %bb.1028:                             ;   in Loop: Header=BB4_871 Depth=3
	s_bcnt1_i32_b32 s20, s20
	s_delay_alu instid0(SALU_CYCLE_1)
	v_mov_b32_e32 v2, s20
	ds_add_u64 v0, v[2:3]
	s_cbranch_execnz .LBB4_1862
.LBB4_1029:                             ;   in Loop: Header=BB4_871 Depth=3
	s_or_b32 exec_lo, exec_lo, s15
	s_cbranch_execnz .LBB4_1840
; %bb.1030:                             ;   in Loop: Header=BB4_871 Depth=3
	ds_load_b64 v[8:9], v0
	v_add_co_u32 v12, vcc_lo, v12, v83
	v_add_co_ci_u32_e32 v13, vcc_lo, 0, v13, vcc_lo
	s_mov_b32 s15, exec_lo
	s_waitcnt lgkmcnt(0)
	s_delay_alu instid0(VALU_DEP_1)
	v_cmpx_lt_u64_e64 v[8:9], v[12:13]
	s_cbranch_execz .LBB4_1041
; %bb.1031:                             ;   in Loop: Header=BB4_871 Depth=3
	s_mov_b32 s20, 0
	s_mov_b32 s36, 0
                                        ; implicit-def: $sgpr28
                                        ; implicit-def: $vcc_hi
	s_branch .LBB4_1033
.LBB4_1032:                             ;   in Loop: Header=BB4_1033 Depth=4
	s_or_b32 exec_lo, exec_lo, s38
	s_delay_alu instid0(SALU_CYCLE_1) | instskip(NEXT) | instid1(SALU_CYCLE_1)
	s_and_b32 vcc_lo, exec_lo, vcc_lo
	s_or_b32 s20, vcc_lo, s20
	s_and_not1_b32 s28, s28, exec_lo
	s_and_b32 vcc_lo, vcc_hi, exec_lo
	s_delay_alu instid0(SALU_CYCLE_1)
	s_or_b32 s28, s28, vcc_lo
	s_and_not1_b32 exec_lo, exec_lo, s20
	s_cbranch_execz .LBB4_1039
.LBB4_1033:                             ;   Parent Loop BB4_51 Depth=1
                                        ;     Parent Loop BB4_869 Depth=2
                                        ;       Parent Loop BB4_871 Depth=3
                                        ; =>      This Inner Loop Header: Depth=4
	s_add_i32 s36, s36, 1
                                        ; implicit-def: $sgpr38
	s_delay_alu instid0(SALU_CYCLE_1) | instskip(SKIP_1) | instid1(SALU_CYCLE_1)
	s_cmpk_lg_i32 s36, 0x2710
	s_cselect_b32 s37, -1, 0
	s_and_b32 vcc_lo, exec_lo, s37
	s_cbranch_vccnz .LBB4_1036
; %bb.1034:                             ;   in Loop: Header=BB4_1033 Depth=4
	s_cbranch_execnz .LBB4_1902
; %bb.1035:                             ;   in Loop: Header=BB4_1033 Depth=4
	ds_load_b64 v[8:9], v0
	s_and_not1_b32 s37, s37, exec_lo
	s_mov_b32 s36, 0
	s_mov_b32 s38, -1
	s_waitcnt lgkmcnt(0)
	flat_load_b32 v2, v[8:9] glc
	s_waitcnt vmcnt(0) lgkmcnt(0)
	buffer_gl1_inv
	buffer_gl0_inv
	v_cmp_eq_u32_e32 vcc_lo, 0, v2
	s_and_b32 vcc_lo, vcc_lo, exec_lo
	s_delay_alu instid0(SALU_CYCLE_1)
	s_or_b32 s37, s37, vcc_lo
.LBB4_1036:                             ;   in Loop: Header=BB4_1033 Depth=4
	s_and_not1_b32 vcc_hi, vcc_hi, exec_lo
	s_and_b32 s38, s38, exec_lo
	s_mov_b32 vcc_lo, -1
	s_or_b32 vcc_hi, vcc_hi, s38
	s_and_saveexec_b32 s38, s37
	s_cbranch_execz .LBB4_1032
; %bb.1037:                             ;   in Loop: Header=BB4_1033 Depth=4
	s_sleep 1
	s_cbranch_execnz .LBB4_1894
; %bb.1038:                             ;   in Loop: Header=BB4_1033 Depth=4
	ds_load_b64 v[8:9], v0
	s_waitcnt lgkmcnt(0)
	v_cmp_ge_u64_e32 vcc_lo, v[8:9], v[12:13]
	s_and_not1_b32 vcc_hi, vcc_hi, exec_lo
	s_or_not1_b32 vcc_lo, vcc_lo, exec_lo
	s_branch .LBB4_1032
.LBB4_1039:                             ;   in Loop: Header=BB4_871 Depth=3
	s_or_b32 exec_lo, exec_lo, s20
	s_and_saveexec_b32 s20, s28
	s_delay_alu instid0(SALU_CYCLE_1)
	s_xor_b32 s20, exec_lo, s20
	s_cbranch_execz .LBB4_1041
; %bb.1040:                             ;   in Loop: Header=BB4_871 Depth=3
	ds_store_b32 v0, v128
	s_cbranch_execnz .LBB4_1948
.LBB4_1041:                             ;   in Loop: Header=BB4_871 Depth=3
	s_or_b32 exec_lo, exec_lo, s15
	;;#ASMSTART
	s_wakeup
	;;#ASMEND
.LBB4_1042:                             ;   in Loop: Header=BB4_871 Depth=3
	s_or_b32 exec_lo, exec_lo, s14
.LBB4_1043:                             ;   in Loop: Header=BB4_871 Depth=3
	s_and_not1_saveexec_b32 s13, s13
	s_cbranch_execz .LBB4_1045
; %bb.1044:                             ;   in Loop: Header=BB4_871 Depth=3
	s_waitcnt lgkmcnt(0)
	s_waitcnt_vscnt null, 0x0
	buffer_gl1_inv
	buffer_gl0_inv
	s_barrier
.LBB4_1045:                             ;   in Loop: Header=BB4_871 Depth=3
	s_or_b32 exec_lo, exec_lo, s13
.LBB4_1046:                             ;   in Loop: Header=BB4_871 Depth=3
	s_delay_alu instid0(SALU_CYCLE_1) | instskip(SKIP_1) | instid1(SALU_CYCLE_1)
	s_or_b32 exec_lo, exec_lo, s6
                                        ; implicit-def: $vgpr2
	s_and_saveexec_b32 s6, s7
	s_xor_b32 s6, exec_lo, s6
	s_cbranch_execz .LBB4_1050
; %bb.1047:                             ;   in Loop: Header=BB4_871 Depth=3
	v_and_b32_e32 v2, 16, v30
	v_cmp_lt_i32_e32 vcc_lo, 0, v51
	s_delay_alu instid0(VALU_DEP_2) | instskip(SKIP_1) | instid1(VALU_DEP_2)
	v_cmp_ne_u32_e64 s13, 0, v2
	v_and_b32_e32 v2, 16, v30
	s_and_b32 s14, s13, vcc_lo
	s_delay_alu instid0(SALU_CYCLE_1)
	s_and_saveexec_b32 s13, s14
	s_cbranch_execz .LBB4_1049
; %bb.1048:                             ;   in Loop: Header=BB4_871 Depth=3
	v_mov_b32_e32 v2, 1
	s_waitcnt lgkmcnt(0)
	s_waitcnt_vscnt null, 0x0
	buffer_gl1_inv
	buffer_gl0_inv
.LBB4_1049:                             ;   in Loop: Header=BB4_871 Depth=3
	s_or_b32 exec_lo, exec_lo, s13
.LBB4_1050:                             ;   in Loop: Header=BB4_871 Depth=3
	s_and_not1_saveexec_b32 s6, s6
	s_cbranch_execz .LBB4_1072
; %bb.1051:                             ;   in Loop: Header=BB4_871 Depth=3
	s_and_saveexec_b32 s13, s4
	s_delay_alu instid0(SALU_CYCLE_1)
	s_xor_b32 s13, exec_lo, s13
	s_cbranch_execz .LBB4_1069
; %bb.1052:                             ;   in Loop: Header=BB4_871 Depth=3
	s_and_saveexec_b32 s14, s1
	s_cbranch_execz .LBB4_1068
; %bb.1053:                             ;   in Loop: Header=BB4_871 Depth=3
	s_mov_b32 s20, exec_lo
	s_mov_b32 s15, exec_lo
	v_mbcnt_lo_u32_b32 v2, s20, 0
	;;#ASMSTART
	s_waitcnt lgkmcnt(0) vmcnt(0)
	;;#ASMEND
	s_delay_alu instid0(VALU_DEP_1)
	v_cmpx_eq_u32_e32 0, v2
	s_cbranch_execz .LBB4_1055
; %bb.1054:                             ;   in Loop: Header=BB4_871 Depth=3
	s_bcnt1_i32_b32 s20, s20
	s_delay_alu instid0(SALU_CYCLE_1)
	v_mov_b32_e32 v2, s20
	ds_add_u64 v0, v[2:3]
	s_cbranch_execnz .LBB4_1864
.LBB4_1055:                             ;   in Loop: Header=BB4_871 Depth=3
	s_or_b32 exec_lo, exec_lo, s15
	s_cbranch_execnz .LBB4_1844
; %bb.1056:                             ;   in Loop: Header=BB4_871 Depth=3
	ds_load_b64 v[8:9], v0
	v_add_co_u32 v12, vcc_lo, v12, v83
	v_add_co_ci_u32_e32 v13, vcc_lo, 0, v13, vcc_lo
	s_mov_b32 s15, exec_lo
	s_waitcnt lgkmcnt(0)
	s_delay_alu instid0(VALU_DEP_1)
	v_cmpx_lt_u64_e64 v[8:9], v[12:13]
	s_cbranch_execz .LBB4_1067
; %bb.1057:                             ;   in Loop: Header=BB4_871 Depth=3
	s_mov_b32 s20, 0
	s_mov_b32 s36, 0
                                        ; implicit-def: $sgpr28
                                        ; implicit-def: $vcc_hi
	s_branch .LBB4_1059
.LBB4_1058:                             ;   in Loop: Header=BB4_1059 Depth=4
	s_or_b32 exec_lo, exec_lo, s38
	s_delay_alu instid0(SALU_CYCLE_1) | instskip(NEXT) | instid1(SALU_CYCLE_1)
	s_and_b32 vcc_lo, exec_lo, vcc_lo
	s_or_b32 s20, vcc_lo, s20
	s_and_not1_b32 s28, s28, exec_lo
	s_and_b32 vcc_lo, vcc_hi, exec_lo
	s_delay_alu instid0(SALU_CYCLE_1)
	s_or_b32 s28, s28, vcc_lo
	s_and_not1_b32 exec_lo, exec_lo, s20
	s_cbranch_execz .LBB4_1065
.LBB4_1059:                             ;   Parent Loop BB4_51 Depth=1
                                        ;     Parent Loop BB4_869 Depth=2
                                        ;       Parent Loop BB4_871 Depth=3
                                        ; =>      This Inner Loop Header: Depth=4
	s_add_i32 s36, s36, 1
                                        ; implicit-def: $sgpr38
	s_delay_alu instid0(SALU_CYCLE_1) | instskip(SKIP_1) | instid1(SALU_CYCLE_1)
	s_cmpk_lg_i32 s36, 0x2710
	s_cselect_b32 s37, -1, 0
	s_and_b32 vcc_lo, exec_lo, s37
	s_cbranch_vccnz .LBB4_1062
; %bb.1060:                             ;   in Loop: Header=BB4_1059 Depth=4
	s_cbranch_execnz .LBB4_1906
; %bb.1061:                             ;   in Loop: Header=BB4_1059 Depth=4
	ds_load_b64 v[8:9], v0
	s_and_not1_b32 s37, s37, exec_lo
	s_mov_b32 s36, 0
	s_mov_b32 s38, -1
	s_waitcnt lgkmcnt(0)
	s_waitcnt_vscnt null, 0x0
	flat_load_b32 v2, v[8:9] glc
	s_waitcnt vmcnt(0) lgkmcnt(0)
	buffer_gl1_inv
	buffer_gl0_inv
	v_cmp_eq_u32_e32 vcc_lo, 0, v2
	s_and_b32 vcc_lo, vcc_lo, exec_lo
	s_delay_alu instid0(SALU_CYCLE_1)
	s_or_b32 s37, s37, vcc_lo
.LBB4_1062:                             ;   in Loop: Header=BB4_1059 Depth=4
	s_and_not1_b32 vcc_hi, vcc_hi, exec_lo
	s_and_b32 s38, s38, exec_lo
	s_mov_b32 vcc_lo, -1
	s_or_b32 vcc_hi, vcc_hi, s38
	s_and_saveexec_b32 s38, s37
	s_cbranch_execz .LBB4_1058
; %bb.1063:                             ;   in Loop: Header=BB4_1059 Depth=4
	s_sleep 1
	s_cbranch_execnz .LBB4_1900
; %bb.1064:                             ;   in Loop: Header=BB4_1059 Depth=4
	ds_load_b64 v[8:9], v0
	s_waitcnt lgkmcnt(0)
	v_cmp_ge_u64_e32 vcc_lo, v[8:9], v[12:13]
	s_and_not1_b32 vcc_hi, vcc_hi, exec_lo
	s_or_not1_b32 vcc_lo, vcc_lo, exec_lo
	s_branch .LBB4_1058
.LBB4_1065:                             ;   in Loop: Header=BB4_871 Depth=3
	s_or_b32 exec_lo, exec_lo, s20
	s_and_saveexec_b32 s20, s28
	s_delay_alu instid0(SALU_CYCLE_1)
	s_xor_b32 s20, exec_lo, s20
	s_cbranch_execz .LBB4_1067
; %bb.1066:                             ;   in Loop: Header=BB4_871 Depth=3
	ds_store_b32 v0, v128
	s_cbranch_execnz .LBB4_1950
.LBB4_1067:                             ;   in Loop: Header=BB4_871 Depth=3
	s_or_b32 exec_lo, exec_lo, s15
	;;#ASMSTART
	s_wakeup
	;;#ASMEND
.LBB4_1068:                             ;   in Loop: Header=BB4_871 Depth=3
	s_or_b32 exec_lo, exec_lo, s14
.LBB4_1069:                             ;   in Loop: Header=BB4_871 Depth=3
	s_and_not1_saveexec_b32 s13, s13
	s_cbranch_execz .LBB4_1071
; %bb.1070:                             ;   in Loop: Header=BB4_871 Depth=3
	;;#ASMSTART
	s_waitcnt lgkmcnt(0) vmcnt(0)
	;;#ASMEND
	s_waitcnt lgkmcnt(0)
	s_waitcnt_vscnt null, 0x0
	s_barrier
.LBB4_1071:                             ;   in Loop: Header=BB4_871 Depth=3
	s_or_b32 exec_lo, exec_lo, s13
	v_and_b32_e32 v2, 16, v30
.LBB4_1072:                             ;   in Loop: Header=BB4_871 Depth=3
	s_or_b32 exec_lo, exec_lo, s6
	s_delay_alu instid0(VALU_DEP_1) | instskip(SKIP_1) | instid1(SALU_CYCLE_1)
	v_cmp_ne_u32_e32 vcc_lo, 0, v2
	s_xor_b32 s6, s10, -1
	s_and_b32 s13, vcc_lo, s6
	s_delay_alu instid0(SALU_CYCLE_1)
	s_and_saveexec_b32 s6, s13
	s_cbranch_execz .LBB4_1074
; %bb.1073:                             ;   in Loop: Header=BB4_871 Depth=3
	s_waitcnt lgkmcnt(0)
	s_waitcnt_vscnt null, 0x0
	flat_store_b32 v[26:27], v128
.LBB4_1074:                             ;   in Loop: Header=BB4_871 Depth=3
	s_or_b32 exec_lo, exec_lo, s6
	v_and_b32_e32 v2, 48, v30
	s_mov_b32 s6, exec_lo
	s_delay_alu instid0(VALU_DEP_1)
	v_cmpx_ne_u32_e32 0, v2
	s_cbranch_execz .LBB4_1076
; %bb.1075:                             ;   in Loop: Header=BB4_871 Depth=3
	v_add_co_u32 v22, vcc_lo, v22, 2
	v_add_co_ci_u32_e32 v23, vcc_lo, 0, v23, vcc_lo
	s_waitcnt lgkmcnt(0)
	s_waitcnt_vscnt null, 0x0
	flat_store_b64 v[20:21], v[22:23]
.LBB4_1076:                             ;   in Loop: Header=BB4_871 Depth=3
	s_or_b32 exec_lo, exec_lo, s6
	v_add_nc_u32_e32 v52, v50, v52
	s_xor_b32 s6, s34, -1
	v_mov_b32_e32 v2, s35
	s_mov_b32 s34, 0
	s_mov_b32 s35, 2
	v_cmp_ge_i32_e32 vcc_lo, v52, v66
	s_or_b32 s6, s6, vcc_lo
	s_delay_alu instid0(SALU_CYCLE_1) | instskip(NEXT) | instid1(SALU_CYCLE_1)
	s_and_b32 s6, exec_lo, s6
	s_or_b32 s31, s6, s31
	s_delay_alu instid0(SALU_CYCLE_1)
	s_and_not1_b32 exec_lo, exec_lo, s31
	s_cbranch_execnz .LBB4_871
; %bb.1077:                             ;   in Loop: Header=BB4_869 Depth=2
	s_or_b32 exec_lo, exec_lo, s31
.LBB4_1078:                             ;   in Loop: Header=BB4_869 Depth=2
	s_delay_alu instid0(SALU_CYCLE_1) | instskip(NEXT) | instid1(SALU_CYCLE_1)
	s_or_b32 exec_lo, exec_lo, s30
	s_mov_b32 s14, exec_lo
	v_cmpx_gt_i32_e32 2, v2
	s_cbranch_execz .LBB4_1162
; %bb.1079:                             ;   in Loop: Header=BB4_869 Depth=2
	v_cmp_eq_u32_e64 s6, 0, v2
	s_mov_b32 s15, 0
.LBB4_1080:                             ;   Parent Loop BB4_51 Depth=1
                                        ;     Parent Loop BB4_869 Depth=2
                                        ; =>    This Loop Header: Depth=3
                                        ;         Child Loop BB4_1086 Depth 4
                                        ;         Child Loop BB4_1116 Depth 4
                                        ;         Child Loop BB4_1143 Depth 4
	v_and_b32_e32 v2, 12, v30
	s_mov_b32 s20, -1
	s_mov_b32 s13, exec_lo
	s_delay_alu instid0(VALU_DEP_1)
	v_cmpx_ne_u32_e32 0, v2
	s_cbranch_execz .LBB4_1094
; %bb.1081:                             ;   in Loop: Header=BB4_1080 Depth=3
	v_and_b32_e32 v2, 8, v30
	s_delay_alu instid0(VALU_DEP_1) | instskip(SKIP_3) | instid1(VALU_DEP_1)
	v_add_co_u32 v10, vcc_lo, v28, v2
	v_add_co_ci_u32_e32 v11, vcc_lo, 0, v29, vcc_lo
	v_add_co_u32 v8, vcc_lo, v22, 2
	v_add_co_ci_u32_e32 v9, vcc_lo, 0, v23, vcc_lo
	v_cmp_lt_u64_e32 vcc_lo, v[10:11], v[8:9]
	v_mov_b32_e32 v10, 1
	s_and_saveexec_b32 s20, vcc_lo
	s_cbranch_execz .LBB4_1093
; %bb.1082:                             ;   in Loop: Header=BB4_1080 Depth=3
	v_mov_b32_e32 v10, 0
	s_mov_b32 s28, 0
                                        ; implicit-def: $vcc_hi
	s_branch .LBB4_1086
.LBB4_1083:                             ;   in Loop: Header=BB4_1086 Depth=4
	s_or_b32 exec_lo, exec_lo, s35
	v_mov_b32_e32 v11, 0
	s_or_not1_b32 s34, s34, exec_lo
.LBB4_1084:                             ;   in Loop: Header=BB4_1086 Depth=4
	s_or_b32 exec_lo, exec_lo, s31
	s_delay_alu instid0(VALU_DEP_1) | instskip(SKIP_2) | instid1(SALU_CYCLE_1)
	v_mov_b32_e32 v10, v11
	s_and_not1_b32 vcc_lo, vcc_hi, exec_lo
	s_and_b32 vcc_hi, s34, exec_lo
	s_or_b32 vcc_hi, vcc_lo, vcc_hi
.LBB4_1085:                             ;   in Loop: Header=BB4_1086 Depth=4
	s_or_b32 exec_lo, exec_lo, s30
	s_waitcnt vmcnt(0) lgkmcnt(0)
	v_add_co_u32 v53, vcc_lo, v28, v2
	v_add_co_ci_u32_e32 v54, vcc_lo, 0, v29, vcc_lo
	s_delay_alu instid0(VALU_DEP_1) | instskip(SKIP_1) | instid1(SALU_CYCLE_1)
	v_cmp_ge_u64_e32 vcc_lo, v[53:54], v[8:9]
	s_xor_b32 s30, vcc_hi, -1
	s_or_b32 vcc_lo, s30, vcc_lo
	s_delay_alu instid0(SALU_CYCLE_1) | instskip(NEXT) | instid1(SALU_CYCLE_1)
	s_and_b32 vcc_lo, exec_lo, vcc_lo
	s_or_b32 s28, vcc_lo, s28
	s_delay_alu instid0(SALU_CYCLE_1)
	s_and_not1_b32 exec_lo, exec_lo, s28
	s_cbranch_execz .LBB4_1092
.LBB4_1086:                             ;   Parent Loop BB4_51 Depth=1
                                        ;     Parent Loop BB4_869 Depth=2
                                        ;       Parent Loop BB4_1080 Depth=3
                                        ; =>      This Inner Loop Header: Depth=4
	s_sleep 1
	flat_load_b64 v[28:29], v[20:21] glc
	v_and_b32_e32 v11, 64, v30
	s_and_not1_b32 vcc_hi, vcc_hi, exec_lo
	s_mov_b32 s30, exec_lo
	s_delay_alu instid0(VALU_DEP_1)
	v_cmpx_eq_u32_e32 0, v11
	s_cbranch_execz .LBB4_1085
; %bb.1087:                             ;   in Loop: Header=BB4_1086 Depth=4
	v_add_nc_u32_e32 v11, 1, v10
	s_mov_b32 s34, -1
	s_mov_b32 s31, exec_lo
	v_cmpx_lt_i32_e32 0x270e, v10
	s_cbranch_execz .LBB4_1084
; %bb.1088:                             ;   in Loop: Header=BB4_1086 Depth=4
	s_cbranch_execnz .LBB4_1608
; %bb.1089:                             ;   in Loop: Header=BB4_1086 Depth=4
	ds_load_b64 v[10:11], v0
	s_mov_b32 s35, exec_lo
	s_waitcnt vmcnt(0) lgkmcnt(0)
	s_waitcnt_vscnt null, 0x0
	flat_load_b32 v10, v[10:11] glc
	s_waitcnt vmcnt(0) lgkmcnt(0)
	buffer_gl1_inv
	buffer_gl0_inv
	v_cmpx_ne_u32_e32 0, v10
	s_cbranch_execz .LBB4_1083
; %bb.1090:                             ;   in Loop: Header=BB4_1086 Depth=4
	ds_store_b32 v0, v10
	s_cbranch_execnz .LBB4_1688
; %bb.1091:                             ;   in Loop: Header=BB4_1086 Depth=4
	v_or_b32_e32 v30, 64, v30
	s_xor_b32 s34, exec_lo, -1
	s_branch .LBB4_1083
.LBB4_1092:                             ;   in Loop: Header=BB4_1080 Depth=3
	s_or_b32 exec_lo, exec_lo, s28
	v_and_b32_e32 v10, 12, v30
.LBB4_1093:                             ;   in Loop: Header=BB4_1080 Depth=3
	s_or_b32 exec_lo, exec_lo, s20
	s_delay_alu instid0(VALU_DEP_1)
	v_cmp_eq_u32_e32 vcc_lo, 0, v10
	;;#ASMSTART
	s_wakeup
	;;#ASMEND
	s_or_not1_b32 s20, vcc_lo, exec_lo
.LBB4_1094:                             ;   in Loop: Header=BB4_1080 Depth=3
	s_or_b32 exec_lo, exec_lo, s13
	v_sub_nc_u32_e32 v2, v66, v52
	s_xor_b32 s6, s6, -1
	s_delay_alu instid0(SALU_CYCLE_1) | instskip(NEXT) | instid1(SALU_CYCLE_1)
	s_and_b32 s6, exec_lo, s6
	s_or_b32 s15, s6, s15
	s_delay_alu instid0(VALU_DEP_1) | instskip(SKIP_1) | instid1(SALU_CYCLE_1)
	v_min_i32_e32 v50, v50, v2
	s_xor_b32 s13, s20, -1
	s_and_saveexec_b32 s6, s13
	s_cbranch_execz .LBB4_1107
; %bb.1095:                             ;   in Loop: Header=BB4_1080 Depth=3
	v_and_b32_e32 v2, 0x108, v30
	s_delay_alu instid0(VALU_DEP_1) | instskip(SKIP_2) | instid1(SALU_CYCLE_1)
	v_cmp_ne_u32_e32 vcc_lo, 0x108, v2
	v_and_b32_e32 v2, 7, v22
	s_and_saveexec_b32 s13, vcc_lo
	s_xor_b32 s13, exec_lo, s13
	s_delay_alu instid0(SALU_CYCLE_1)
	s_and_not1_saveexec_b32 s13, s13
	s_cbranch_execz .LBB4_1097
; %bb.1096:                             ;   in Loop: Header=BB4_1080 Depth=3
	v_ashrrev_i32_e32 v51, 31, v50
	v_mad_u64_u32 v[8:9], null, v2, 24, v[6:7]
	s_delay_alu instid0(VALU_DEP_2)
	v_lshlrev_b64 v[10:11], 3, v[50:51]
	flat_store_b64 v[8:9], v[10:11] offset:8
.LBB4_1097:                             ;   in Loop: Header=BB4_1080 Depth=3
	s_or_b32 exec_lo, exec_lo, s13
	v_and_b32_e32 v8, 0x100, v30
	s_mov_b32 s13, -1
	s_delay_alu instid0(VALU_DEP_1)
	v_cmp_ne_u32_e32 vcc_lo, 0, v8
                                        ; implicit-def: $vgpr8_vgpr9
	s_and_saveexec_b32 s20, vcc_lo
	s_cbranch_execnz .LBB4_1100
; %bb.1098:                             ;   in Loop: Header=BB4_1080 Depth=3
	s_or_b32 exec_lo, exec_lo, s20
	s_and_saveexec_b32 s20, s13
	s_cbranch_execnz .LBB4_1103
.LBB4_1099:                             ;   in Loop: Header=BB4_1080 Depth=3
	s_or_b32 exec_lo, exec_lo, s20
	s_cbranch_execnz .LBB4_1598
	s_branch .LBB4_1104
.LBB4_1100:                             ;   in Loop: Header=BB4_1080 Depth=3
	v_mad_u64_u32 v[10:11], null, v2, 24, v[6:7]
	s_delay_alu instid0(VALU_DEP_1) | instskip(NEXT) | instid1(VALU_DEP_1)
	v_mov_b32_e32 v8, v11
	v_mad_u64_u32 v[53:54], null, v3, 24, v[8:9]
	s_delay_alu instid0(VALU_DEP_1) | instskip(SKIP_4) | instid1(VALU_DEP_1)
	v_mov_b32_e32 v11, v53
	flat_load_b32 v8, v[10:11]
	s_waitcnt vmcnt(0) lgkmcnt(0)
	v_cmp_ne_u32_e32 vcc_lo, 1, v8
	v_cmp_eq_u32_e64 s13, 1, v8
                                        ; implicit-def: $vgpr8_vgpr9
	s_and_saveexec_b32 s28, s13
	s_cbranch_execz .LBB4_1102
; %bb.1101:                             ;   in Loop: Header=BB4_1080 Depth=3
	flat_load_b32 v8, v[10:11] offset:4 glc
	s_waitcnt vmcnt(0) lgkmcnt(0)
	v_ashrrev_i32_e32 v9, 31, v8
	s_delay_alu instid0(VALU_DEP_1)
	v_lshrrev_b64 v[8:9], 3, v[8:9]
.LBB4_1102:                             ;   in Loop: Header=BB4_1080 Depth=3
	s_or_b32 exec_lo, exec_lo, s28
	s_delay_alu instid0(SALU_CYCLE_1)
	s_or_not1_b32 s13, vcc_lo, exec_lo
	s_or_b32 exec_lo, exec_lo, s20
	s_and_saveexec_b32 s20, s13
	s_cbranch_execz .LBB4_1099
.LBB4_1103:                             ;   in Loop: Header=BB4_1080 Depth=3
	v_mul_lo_u32 v10, v3, v81
	v_mul_lo_u32 v11, v2, v82
	v_mad_u64_u32 v[8:9], null, v2, v81, 0
	s_delay_alu instid0(VALU_DEP_1)
	v_add3_u32 v9, v9, v11, v10
	s_or_b32 exec_lo, exec_lo, s20
	s_cbranch_execnz .LBB4_1598
.LBB4_1104:                             ;   in Loop: Header=BB4_1080 Depth=3
	s_delay_alu instid0(VALU_DEP_1) | instskip(SKIP_2) | instid1(VALU_DEP_2)
	v_lshlrev_b64 v[8:9], 3, v[8:9]
	v_and_b32_e32 v2, 0x2000, v30
	s_mov_b32 s13, exec_lo
	v_add_co_u32 v8, vcc_lo, v24, v8
	s_delay_alu instid0(VALU_DEP_3)
	v_add_co_ci_u32_e32 v9, vcc_lo, v25, v9, vcc_lo
	ds_store_b64 v0, v[8:9]
	v_cmpx_ne_u32_e32 0, v2
	s_cbranch_execz .LBB4_1106
; %bb.1105:                             ;   in Loop: Header=BB4_1080 Depth=3
	ds_load_b64 v[8:9], v0 offset:584
	s_waitcnt lgkmcnt(0)
	v_add_co_u32 v8, vcc_lo, v8, 1
	v_add_co_ci_u32_e32 v9, vcc_lo, 0, v9, vcc_lo
	ds_store_b64 v0, v[8:9] offset:584
.LBB4_1106:                             ;   in Loop: Header=BB4_1080 Depth=3
	s_or_b32 exec_lo, exec_lo, s13
	v_add_co_u32 v22, vcc_lo, v22, 2
	v_add_co_ci_u32_e32 v23, vcc_lo, 0, v23, vcc_lo
.LBB4_1107:                             ;   in Loop: Header=BB4_1080 Depth=3
	s_or_b32 exec_lo, exec_lo, s6
	s_and_saveexec_b32 s6, s3
	s_cbranch_execz .LBB4_1129
; %bb.1108:                             ;   in Loop: Header=BB4_1080 Depth=3
	s_and_saveexec_b32 s13, s4
	s_delay_alu instid0(SALU_CYCLE_1)
	s_xor_b32 s13, exec_lo, s13
	s_cbranch_execz .LBB4_1126
; %bb.1109:                             ;   in Loop: Header=BB4_1080 Depth=3
	s_and_saveexec_b32 s20, s1
	s_cbranch_execz .LBB4_1125
; %bb.1110:                             ;   in Loop: Header=BB4_1080 Depth=3
	s_mov_b32 vcc_hi, exec_lo
	s_mov_b32 s28, exec_lo
	v_mbcnt_lo_u32_b32 v2, vcc_hi, 0
	s_waitcnt lgkmcnt(0)
	s_waitcnt_vscnt null, 0x0
	buffer_gl1_inv
	buffer_gl0_inv
	v_cmpx_eq_u32_e32 0, v2
	s_cbranch_execz .LBB4_1112
; %bb.1111:                             ;   in Loop: Header=BB4_1080 Depth=3
	s_bcnt1_i32_b32 vcc_lo, vcc_hi
	s_delay_alu instid0(SALU_CYCLE_1)
	v_mov_b32_e32 v2, vcc_lo
	ds_add_u64 v0, v[2:3]
	s_cbranch_execnz .LBB4_1744
.LBB4_1112:                             ;   in Loop: Header=BB4_1080 Depth=3
	s_or_b32 exec_lo, exec_lo, s28
	s_cbranch_execnz .LBB4_1714
; %bb.1113:                             ;   in Loop: Header=BB4_1080 Depth=3
	ds_load_b64 v[8:9], v0
	v_add_co_u32 v12, vcc_lo, v12, v83
	v_add_co_ci_u32_e32 v13, vcc_lo, 0, v13, vcc_lo
	s_mov_b32 s28, exec_lo
	s_waitcnt lgkmcnt(0)
	s_delay_alu instid0(VALU_DEP_1)
	v_cmpx_lt_u64_e64 v[8:9], v[12:13]
	s_cbranch_execz .LBB4_1124
; %bb.1114:                             ;   in Loop: Header=BB4_1080 Depth=3
	s_mov_b32 vcc_hi, 0
	s_mov_b32 s34, 0
                                        ; implicit-def: $sgpr30
                                        ; implicit-def: $sgpr31
	s_branch .LBB4_1116
.LBB4_1115:                             ;   in Loop: Header=BB4_1116 Depth=4
	s_or_b32 exec_lo, exec_lo, s36
	s_delay_alu instid0(SALU_CYCLE_1) | instskip(NEXT) | instid1(SALU_CYCLE_1)
	s_and_b32 vcc_lo, exec_lo, vcc_lo
	s_or_b32 vcc_hi, vcc_lo, vcc_hi
	s_and_not1_b32 vcc_lo, s30, exec_lo
	s_and_b32 s30, s31, exec_lo
	s_delay_alu instid0(SALU_CYCLE_1)
	s_or_b32 s30, vcc_lo, s30
	s_and_not1_b32 exec_lo, exec_lo, vcc_hi
	s_cbranch_execz .LBB4_1122
.LBB4_1116:                             ;   Parent Loop BB4_51 Depth=1
                                        ;     Parent Loop BB4_869 Depth=2
                                        ;       Parent Loop BB4_1080 Depth=3
                                        ; =>      This Inner Loop Header: Depth=4
	s_add_i32 s34, s34, 1
                                        ; implicit-def: $sgpr36
	s_delay_alu instid0(SALU_CYCLE_1) | instskip(SKIP_1) | instid1(SALU_CYCLE_1)
	s_cmpk_lg_i32 s34, 0x2710
	s_cselect_b32 s35, -1, 0
	s_and_b32 vcc_lo, exec_lo, s35
	s_cbranch_vccz .LBB4_1120
.LBB4_1117:                             ;   in Loop: Header=BB4_1116 Depth=4
	s_and_not1_b32 s31, s31, exec_lo
	s_and_b32 s36, s36, exec_lo
	s_mov_b32 vcc_lo, -1
	s_or_b32 s31, s31, s36
	s_and_saveexec_b32 s36, s35
	s_cbranch_execz .LBB4_1115
; %bb.1118:                             ;   in Loop: Header=BB4_1116 Depth=4
	s_sleep 1
	s_cbranch_execnz .LBB4_1794
; %bb.1119:                             ;   in Loop: Header=BB4_1116 Depth=4
	ds_load_b64 v[8:9], v0
	s_and_not1_b32 s31, s31, exec_lo
	s_waitcnt lgkmcnt(0)
	v_cmp_ge_u64_e32 vcc_lo, v[8:9], v[12:13]
	s_or_not1_b32 vcc_lo, vcc_lo, exec_lo
	s_branch .LBB4_1115
.LBB4_1120:                             ;   in Loop: Header=BB4_1116 Depth=4
	s_cbranch_execnz .LBB4_1814
; %bb.1121:                             ;   in Loop: Header=BB4_1116 Depth=4
	ds_load_b64 v[8:9], v0
	s_and_not1_b32 s35, s35, exec_lo
	s_mov_b32 s34, 0
	s_mov_b32 s36, -1
	s_waitcnt lgkmcnt(0)
	flat_load_b32 v2, v[8:9] glc
	s_waitcnt vmcnt(0) lgkmcnt(0)
	buffer_gl1_inv
	buffer_gl0_inv
	v_cmp_eq_u32_e32 vcc_lo, 0, v2
	s_and_b32 vcc_lo, vcc_lo, exec_lo
	s_delay_alu instid0(SALU_CYCLE_1)
	s_or_b32 s35, s35, vcc_lo
	s_branch .LBB4_1117
.LBB4_1122:                             ;   in Loop: Header=BB4_1080 Depth=3
	s_or_b32 exec_lo, exec_lo, vcc_hi
	s_and_saveexec_b32 vcc_lo, s30
	s_delay_alu instid0(SALU_CYCLE_1)
	s_xor_b32 vcc_lo, exec_lo, vcc_lo
	s_cbranch_execz .LBB4_1124
; %bb.1123:                             ;   in Loop: Header=BB4_1080 Depth=3
	ds_store_b32 v0, v128
	s_cbranch_execnz .LBB4_1928
.LBB4_1124:                             ;   in Loop: Header=BB4_1080 Depth=3
	s_or_b32 exec_lo, exec_lo, s28
	;;#ASMSTART
	s_wakeup
	;;#ASMEND
.LBB4_1125:                             ;   in Loop: Header=BB4_1080 Depth=3
	s_or_b32 exec_lo, exec_lo, s20
.LBB4_1126:                             ;   in Loop: Header=BB4_1080 Depth=3
	s_and_not1_saveexec_b32 s13, s13
	s_cbranch_execz .LBB4_1128
; %bb.1127:                             ;   in Loop: Header=BB4_1080 Depth=3
	s_waitcnt lgkmcnt(0)
	s_waitcnt_vscnt null, 0x0
	buffer_gl1_inv
	buffer_gl0_inv
	s_barrier
.LBB4_1128:                             ;   in Loop: Header=BB4_1080 Depth=3
	s_or_b32 exec_lo, exec_lo, s13
.LBB4_1129:                             ;   in Loop: Header=BB4_1080 Depth=3
	s_delay_alu instid0(SALU_CYCLE_1) | instskip(SKIP_1) | instid1(SALU_CYCLE_1)
	s_or_b32 exec_lo, exec_lo, s6
                                        ; implicit-def: $vgpr2
	s_and_saveexec_b32 s6, s7
	s_xor_b32 s6, exec_lo, s6
	s_cbranch_execz .LBB4_1134
; %bb.1130:                             ;   in Loop: Header=BB4_1080 Depth=3
	s_cbranch_execnz .LBB4_1630
; %bb.1131:                             ;   in Loop: Header=BB4_1080 Depth=3
	ds_load_b32 v2, v0
	v_cmp_lt_i32_e32 vcc_lo, 0, v50
	s_waitcnt lgkmcnt(0)
	v_readfirstlane_b32 s13, v2
	v_and_b32_e32 v2, 16, v30
	s_delay_alu instid0(VALU_DEP_2) | instskip(NEXT) | instid1(VALU_DEP_1)
	s_cmp_eq_u32 s13, 0
	v_cmp_ne_u32_e64 s13, 0, v2
	s_cselect_b32 s20, -1, 0
	v_and_b32_e32 v2, 16, v30
	s_and_b32 s20, vcc_lo, s20
	s_delay_alu instid0(VALU_DEP_2) | instid1(SALU_CYCLE_1)
	s_and_b32 s20, s13, s20
	s_delay_alu instid0(SALU_CYCLE_1)
	s_and_saveexec_b32 s13, s20
	s_cbranch_execz .LBB4_1133
; %bb.1132:                             ;   in Loop: Header=BB4_1080 Depth=3
	v_mov_b32_e32 v2, 1
	s_waitcnt_vscnt null, 0x0
	buffer_gl1_inv
	buffer_gl0_inv
.LBB4_1133:                             ;   in Loop: Header=BB4_1080 Depth=3
	s_or_b32 exec_lo, exec_lo, s13
.LBB4_1134:                             ;   in Loop: Header=BB4_1080 Depth=3
	s_and_not1_saveexec_b32 s6, s6
	s_cbranch_execz .LBB4_1156
; %bb.1135:                             ;   in Loop: Header=BB4_1080 Depth=3
	s_and_saveexec_b32 s13, s4
	s_delay_alu instid0(SALU_CYCLE_1)
	s_xor_b32 s13, exec_lo, s13
	s_cbranch_execz .LBB4_1153
; %bb.1136:                             ;   in Loop: Header=BB4_1080 Depth=3
	s_and_saveexec_b32 s20, s1
	s_cbranch_execz .LBB4_1152
; %bb.1137:                             ;   in Loop: Header=BB4_1080 Depth=3
	s_mov_b32 vcc_hi, exec_lo
	s_mov_b32 s28, exec_lo
	v_mbcnt_lo_u32_b32 v2, vcc_hi, 0
	;;#ASMSTART
	s_waitcnt lgkmcnt(0) vmcnt(0)
	;;#ASMEND
	s_delay_alu instid0(VALU_DEP_1)
	v_cmpx_eq_u32_e32 0, v2
	s_cbranch_execz .LBB4_1139
; %bb.1138:                             ;   in Loop: Header=BB4_1080 Depth=3
	s_bcnt1_i32_b32 vcc_lo, vcc_hi
	s_delay_alu instid0(SALU_CYCLE_1)
	v_mov_b32_e32 v2, vcc_lo
	ds_add_u64 v0, v[2:3]
	s_cbranch_execnz .LBB4_1766
.LBB4_1139:                             ;   in Loop: Header=BB4_1080 Depth=3
	s_or_b32 exec_lo, exec_lo, s28
	s_cbranch_execnz .LBB4_1742
; %bb.1140:                             ;   in Loop: Header=BB4_1080 Depth=3
	ds_load_b64 v[8:9], v0
	v_add_co_u32 v12, vcc_lo, v12, v83
	v_add_co_ci_u32_e32 v13, vcc_lo, 0, v13, vcc_lo
	s_mov_b32 s28, exec_lo
	s_waitcnt lgkmcnt(0)
	s_delay_alu instid0(VALU_DEP_1)
	v_cmpx_lt_u64_e64 v[8:9], v[12:13]
	s_cbranch_execz .LBB4_1151
; %bb.1141:                             ;   in Loop: Header=BB4_1080 Depth=3
	s_mov_b32 vcc_hi, 0
	s_mov_b32 s34, 0
                                        ; implicit-def: $sgpr30
                                        ; implicit-def: $sgpr31
	s_branch .LBB4_1143
.LBB4_1142:                             ;   in Loop: Header=BB4_1143 Depth=4
	s_or_b32 exec_lo, exec_lo, s36
	s_delay_alu instid0(SALU_CYCLE_1) | instskip(NEXT) | instid1(SALU_CYCLE_1)
	s_and_b32 vcc_lo, exec_lo, vcc_lo
	s_or_b32 vcc_hi, vcc_lo, vcc_hi
	s_and_not1_b32 vcc_lo, s30, exec_lo
	s_and_b32 s30, s31, exec_lo
	s_delay_alu instid0(SALU_CYCLE_1)
	s_or_b32 s30, vcc_lo, s30
	s_and_not1_b32 exec_lo, exec_lo, vcc_hi
	s_cbranch_execz .LBB4_1149
.LBB4_1143:                             ;   Parent Loop BB4_51 Depth=1
                                        ;     Parent Loop BB4_869 Depth=2
                                        ;       Parent Loop BB4_1080 Depth=3
                                        ; =>      This Inner Loop Header: Depth=4
	s_add_i32 s34, s34, 1
                                        ; implicit-def: $sgpr36
	s_delay_alu instid0(SALU_CYCLE_1) | instskip(SKIP_1) | instid1(SALU_CYCLE_1)
	s_cmpk_lg_i32 s34, 0x2710
	s_cselect_b32 s35, -1, 0
	s_and_b32 vcc_lo, exec_lo, s35
	s_cbranch_vccz .LBB4_1147
.LBB4_1144:                             ;   in Loop: Header=BB4_1143 Depth=4
	s_and_not1_b32 s31, s31, exec_lo
	s_and_b32 s36, s36, exec_lo
	s_mov_b32 vcc_lo, -1
	s_or_b32 s31, s31, s36
	s_and_saveexec_b32 s36, s35
	s_cbranch_execz .LBB4_1142
; %bb.1145:                             ;   in Loop: Header=BB4_1143 Depth=4
	s_sleep 1
	s_cbranch_execnz .LBB4_1826
; %bb.1146:                             ;   in Loop: Header=BB4_1143 Depth=4
	ds_load_b64 v[8:9], v0
	s_and_not1_b32 s31, s31, exec_lo
	s_waitcnt lgkmcnt(0)
	v_cmp_ge_u64_e32 vcc_lo, v[8:9], v[12:13]
	s_or_not1_b32 vcc_lo, vcc_lo, exec_lo
	s_branch .LBB4_1142
.LBB4_1147:                             ;   in Loop: Header=BB4_1143 Depth=4
	s_cbranch_execnz .LBB4_1838
; %bb.1148:                             ;   in Loop: Header=BB4_1143 Depth=4
	ds_load_b64 v[8:9], v0
	s_and_not1_b32 s35, s35, exec_lo
	s_mov_b32 s34, 0
	s_mov_b32 s36, -1
	s_waitcnt lgkmcnt(0)
	s_waitcnt_vscnt null, 0x0
	flat_load_b32 v2, v[8:9] glc
	s_waitcnt vmcnt(0) lgkmcnt(0)
	buffer_gl1_inv
	buffer_gl0_inv
	v_cmp_eq_u32_e32 vcc_lo, 0, v2
	s_and_b32 vcc_lo, vcc_lo, exec_lo
	s_delay_alu instid0(SALU_CYCLE_1)
	s_or_b32 s35, s35, vcc_lo
	s_branch .LBB4_1144
.LBB4_1149:                             ;   in Loop: Header=BB4_1080 Depth=3
	s_or_b32 exec_lo, exec_lo, vcc_hi
	s_and_saveexec_b32 vcc_lo, s30
	s_delay_alu instid0(SALU_CYCLE_1)
	s_xor_b32 vcc_lo, exec_lo, vcc_lo
	s_cbranch_execz .LBB4_1151
; %bb.1150:                             ;   in Loop: Header=BB4_1080 Depth=3
	ds_store_b32 v0, v128
	s_cbranch_execnz .LBB4_1938
.LBB4_1151:                             ;   in Loop: Header=BB4_1080 Depth=3
	s_or_b32 exec_lo, exec_lo, s28
	;;#ASMSTART
	s_wakeup
	;;#ASMEND
.LBB4_1152:                             ;   in Loop: Header=BB4_1080 Depth=3
	s_or_b32 exec_lo, exec_lo, s20
.LBB4_1153:                             ;   in Loop: Header=BB4_1080 Depth=3
	s_and_not1_saveexec_b32 s13, s13
	s_cbranch_execz .LBB4_1155
; %bb.1154:                             ;   in Loop: Header=BB4_1080 Depth=3
	;;#ASMSTART
	s_waitcnt lgkmcnt(0) vmcnt(0)
	;;#ASMEND
	s_waitcnt lgkmcnt(0)
	s_waitcnt_vscnt null, 0x0
	s_barrier
.LBB4_1155:                             ;   in Loop: Header=BB4_1080 Depth=3
	s_or_b32 exec_lo, exec_lo, s13
	v_and_b32_e32 v2, 16, v30
.LBB4_1156:                             ;   in Loop: Header=BB4_1080 Depth=3
	s_or_b32 exec_lo, exec_lo, s6
	s_delay_alu instid0(VALU_DEP_1) | instskip(SKIP_1) | instid1(SALU_CYCLE_1)
	v_cmp_ne_u32_e32 vcc_lo, 0, v2
	s_xor_b32 s6, s10, -1
	s_and_b32 s13, vcc_lo, s6
	s_delay_alu instid0(SALU_CYCLE_1)
	s_and_saveexec_b32 s6, s13
	s_cbranch_execz .LBB4_1158
; %bb.1157:                             ;   in Loop: Header=BB4_1080 Depth=3
	s_waitcnt lgkmcnt(0)
	s_waitcnt_vscnt null, 0x0
	flat_store_b32 v[26:27], v128
.LBB4_1158:                             ;   in Loop: Header=BB4_1080 Depth=3
	s_or_b32 exec_lo, exec_lo, s6
	v_and_b32_e32 v2, 48, v30
	s_mov_b32 s6, exec_lo
	s_delay_alu instid0(VALU_DEP_1)
	v_cmpx_ne_u32_e32 0, v2
	s_cbranch_execz .LBB4_1160
; %bb.1159:                             ;   in Loop: Header=BB4_1080 Depth=3
	v_add_co_u32 v22, vcc_lo, v22, 2
	v_add_co_ci_u32_e32 v23, vcc_lo, 0, v23, vcc_lo
	s_waitcnt lgkmcnt(0)
	s_waitcnt_vscnt null, 0x0
	flat_store_b64 v[20:21], v[22:23]
.LBB4_1160:                             ;   in Loop: Header=BB4_1080 Depth=3
	s_or_b32 exec_lo, exec_lo, s6
	v_add_nc_u32_e32 v52, v50, v52
	s_mov_b32 s6, 0
	s_and_not1_b32 exec_lo, exec_lo, s15
	s_cbranch_execnz .LBB4_1080
; %bb.1161:                             ;   in Loop: Header=BB4_869 Depth=2
	s_or_b32 exec_lo, exec_lo, s15
.LBB4_1162:                             ;   in Loop: Header=BB4_869 Depth=2
	s_delay_alu instid0(SALU_CYCLE_1) | instskip(SKIP_2) | instid1(VALU_DEP_2)
	s_or_b32 exec_lo, exec_lo, s14
	v_readlane_b32 s14, v42, 17
	v_readlane_b32 s13, v42, 12
	s_add_i32 s6, s14, 1
	s_delay_alu instid0(VALU_DEP_1)
	s_cmp_eq_u32 s14, s13
	s_cbranch_scc0 .LBB4_869
.LBB4_1163:                             ;   in Loop: Header=BB4_51 Depth=1
	v_readlane_b32 s6, v42, 11
	s_mov_b32 s13, s17
	s_mov_b32 s30, 0
	v_mul_lo_u32 v2, v37, s13
	v_mad_u64_u32 v[9:10], null, v36, s13, 0
	v_mul_lo_u32 v8, v36, s6
	s_delay_alu instid0(VALU_DEP_2) | instskip(NEXT) | instid1(VALU_DEP_2)
	v_sub_co_u32 v38, vcc_lo, v38, v9
	v_add3_u32 v10, v10, v8, v2
	s_delay_alu instid0(VALU_DEP_1) | instskip(NEXT) | instid1(VALU_DEP_1)
	v_sub_co_ci_u32_e32 v39, vcc_lo, v39, v10, vcc_lo
	v_cmp_lt_i64_e32 vcc_lo, v[36:37], v[38:39]
	v_cndmask_b32_e32 v8, v38, v36, vcc_lo
	s_delay_alu instid0(VALU_DEP_1) | instskip(NEXT) | instid1(VALU_DEP_1)
	v_max_i32_e32 v50, 0, v8
	v_add_nc_u32_e32 v2, 31, v50
	s_delay_alu instid0(VALU_DEP_1) | instskip(NEXT) | instid1(VALU_DEP_1)
	v_lshrrev_b32_e32 v2, 1, v2
	v_and_b32_e32 v11, 0x3ffffff0, v2
	v_cmp_lt_i32_e32 vcc_lo, 0, v8
	v_mov_b32_e32 v2, 0
	v_mov_b32_e32 v8, 0
	s_delay_alu instid0(VALU_DEP_4) | instskip(SKIP_1) | instid1(SALU_CYCLE_1)
	v_max_i32_e32 v51, s25, v11
	s_and_b32 s6, s16, vcc_lo
	s_and_saveexec_b32 s15, s6
	s_cbranch_execz .LBB4_1325
; %bb.1164:                             ;   in Loop: Header=BB4_51 Depth=1
	v_add_co_u32 v8, vcc_lo, v9, v48
	v_add_co_ci_u32_e32 v9, vcc_lo, v10, v49, vcc_lo
	s_mov_b32 s34, 1
	s_mov_b32 s31, -1
	s_delay_alu instid0(VALU_DEP_1)
	v_lshlrev_b64 v[10:11], 3, v[8:9]
	v_mov_b32_e32 v8, 0
.LBB4_1165:                             ;   Parent Loop BB4_51 Depth=1
                                        ; =>  This Loop Header: Depth=2
                                        ;       Child Loop BB4_1174 Depth 3
                                        ;       Child Loop BB4_1201 Depth 3
	;; [unrolled: 1-line block ×9, first 2 shown]
	s_and_saveexec_b32 s6, s0
	s_cbranch_execz .LBB4_1168
; %bb.1166:                             ;   in Loop: Header=BB4_1165 Depth=2
	s_cbranch_execnz .LBB4_1580
; %bb.1167:                             ;   in Loop: Header=BB4_1165 Depth=2
	ds_load_b128 v[52:55], v0
	v_ashrrev_i32_e32 v9, 31, v8
	s_delay_alu instid0(VALU_DEP_1)
	v_lshlrev_b64 v[38:39], 3, v[8:9]
	s_waitcnt lgkmcnt(0)
	v_add_co_u32 v2, vcc_lo, v54, v10
	v_add_co_ci_u32_e32 v9, vcc_lo, v55, v11, vcc_lo
	v_add_co_u32 v48, vcc_lo, v52, v10
	v_add_co_ci_u32_e32 v49, vcc_lo, v53, v11, vcc_lo
	s_delay_alu instid0(VALU_DEP_4) | instskip(NEXT) | instid1(VALU_DEP_4)
	v_add_co_u32 v2, vcc_lo, v2, v38
	v_add_co_ci_u32_e32 v9, vcc_lo, v9, v39, vcc_lo
	v_cmp_ne_u64_e32 vcc_lo, 0, v[54:55]
	v_add_co_u32 v38, s13, v48, v38
	s_delay_alu instid0(VALU_DEP_1) | instskip(NEXT) | instid1(VALU_DEP_4)
	v_add_co_ci_u32_e64 v39, s13, v49, v39, s13
	v_dual_cndmask_b32 v49, 0, v9 :: v_dual_cndmask_b32 v48, 0, v2
	ds_store_b64 v0, v[38:39]
	ds_store_b64 v0, v[48:49]
.LBB4_1168:                             ;   in Loop: Header=BB4_1165 Depth=2
	s_or_b32 exec_lo, exec_lo, s6
	v_and_b32_e32 v2, 4, v30
	s_mov_b32 s13, -1
	s_mov_b32 s6, exec_lo
	s_delay_alu instid0(VALU_DEP_1)
	v_cmpx_ne_u32_e32 0, v2
	s_cbranch_execz .LBB4_1182
; %bb.1169:                             ;   in Loop: Header=BB4_1165 Depth=2
	v_add_co_u32 v38, vcc_lo, v22, 2
	v_add_co_ci_u32_e32 v39, vcc_lo, 0, v23, vcc_lo
	v_mov_b32_e32 v2, 1
	s_mov_b32 s13, exec_lo
	s_delay_alu instid0(VALU_DEP_2)
	v_cmpx_lt_u64_e64 v[28:29], v[38:39]
	s_cbranch_execz .LBB4_1181
; %bb.1170:                             ;   in Loop: Header=BB4_1165 Depth=2
	v_mov_b32_e32 v2, 0
	s_mov_b32 s14, 0
                                        ; implicit-def: $sgpr20
	s_branch .LBB4_1174
.LBB4_1171:                             ;   in Loop: Header=BB4_1174 Depth=3
	s_or_b32 exec_lo, exec_lo, s36
	v_mov_b32_e32 v9, 0
	s_or_not1_b32 s35, s35, exec_lo
.LBB4_1172:                             ;   in Loop: Header=BB4_1174 Depth=3
	s_or_b32 exec_lo, exec_lo, vcc_hi
	s_delay_alu instid0(VALU_DEP_1) | instskip(SKIP_2) | instid1(SALU_CYCLE_1)
	v_mov_b32_e32 v2, v9
	s_and_not1_b32 s20, s20, exec_lo
	s_and_b32 vcc_lo, s35, exec_lo
	s_or_b32 s20, s20, vcc_lo
.LBB4_1173:                             ;   in Loop: Header=BB4_1174 Depth=3
	s_or_b32 exec_lo, exec_lo, s28
	s_waitcnt vmcnt(0) lgkmcnt(0)
	v_cmp_ge_u64_e32 vcc_lo, v[28:29], v[38:39]
	s_xor_b32 s28, s20, -1
	s_delay_alu instid0(SALU_CYCLE_1) | instskip(NEXT) | instid1(SALU_CYCLE_1)
	s_or_b32 s28, s28, vcc_lo
	s_and_b32 s28, exec_lo, s28
	s_delay_alu instid0(SALU_CYCLE_1) | instskip(NEXT) | instid1(SALU_CYCLE_1)
	s_or_b32 s14, s28, s14
	s_and_not1_b32 exec_lo, exec_lo, s14
	s_cbranch_execz .LBB4_1180
.LBB4_1174:                             ;   Parent Loop BB4_51 Depth=1
                                        ;     Parent Loop BB4_1165 Depth=2
                                        ; =>    This Inner Loop Header: Depth=3
	s_sleep 1
	flat_load_b64 v[28:29], v[20:21] glc
	v_and_b32_e32 v9, 64, v30
	s_and_not1_b32 s20, s20, exec_lo
	s_mov_b32 s28, exec_lo
	s_delay_alu instid0(VALU_DEP_1)
	v_cmpx_eq_u32_e32 0, v9
	s_cbranch_execz .LBB4_1173
; %bb.1175:                             ;   in Loop: Header=BB4_1174 Depth=3
	v_add_nc_u32_e32 v9, 1, v2
	s_mov_b32 s35, -1
	s_mov_b32 vcc_hi, exec_lo
	v_cmpx_lt_i32_e32 0x270e, v2
	s_cbranch_execz .LBB4_1172
; %bb.1176:                             ;   in Loop: Header=BB4_1174 Depth=3
	s_cbranch_execnz .LBB4_1626
; %bb.1177:                             ;   in Loop: Header=BB4_1174 Depth=3
	ds_load_b64 v[48:49], v0
	s_mov_b32 s36, exec_lo
	s_waitcnt vmcnt(0) lgkmcnt(0)
	s_waitcnt_vscnt null, 0x0
	flat_load_b32 v2, v[48:49] glc
	s_waitcnt vmcnt(0) lgkmcnt(0)
	buffer_gl1_inv
	buffer_gl0_inv
	v_cmpx_ne_u32_e32 0, v2
	s_cbranch_execz .LBB4_1171
; %bb.1178:                             ;   in Loop: Header=BB4_1174 Depth=3
	ds_store_b32 v0, v2
	s_cbranch_execnz .LBB4_1696
; %bb.1179:                             ;   in Loop: Header=BB4_1174 Depth=3
	v_or_b32_e32 v30, 64, v30
	s_xor_b32 s35, exec_lo, -1
	s_branch .LBB4_1171
.LBB4_1180:                             ;   in Loop: Header=BB4_1165 Depth=2
	s_or_b32 exec_lo, exec_lo, s14
	v_and_b32_e32 v2, 4, v30
.LBB4_1181:                             ;   in Loop: Header=BB4_1165 Depth=2
	s_or_b32 exec_lo, exec_lo, s13
	s_delay_alu instid0(VALU_DEP_1)
	v_cmp_eq_u32_e32 vcc_lo, 0, v2
	;;#ASMSTART
	s_wakeup
	;;#ASMEND
	s_or_not1_b32 s13, vcc_lo, exec_lo
.LBB4_1182:                             ;   in Loop: Header=BB4_1165 Depth=2
	s_or_b32 exec_lo, exec_lo, s6
	s_xor_b32 s13, s13, -1
	s_delay_alu instid0(SALU_CYCLE_1)
	s_and_saveexec_b32 s6, s13
	s_cbranch_execz .LBB4_1192
; %bb.1183:                             ;   in Loop: Header=BB4_1165 Depth=2
	v_and_b32_e32 v2, 0x100, v30
	s_mov_b32 s13, -1
                                        ; implicit-def: $vgpr38_vgpr39
	s_delay_alu instid0(VALU_DEP_1)
	v_cmp_ne_u32_e32 vcc_lo, 0, v2
	v_and_b32_e32 v2, 7, v22
	s_and_saveexec_b32 s14, vcc_lo
	s_cbranch_execz .LBB4_1187
; %bb.1184:                             ;   in Loop: Header=BB4_1165 Depth=2
	s_delay_alu instid0(VALU_DEP_1)
	v_mad_u64_u32 v[48:49], null, v2, 24, v[6:7]
	s_mov_b32 s20, exec_lo
                                        ; implicit-def: $vgpr38_vgpr39
	flat_load_b32 v9, v[48:49]
	s_waitcnt vmcnt(0) lgkmcnt(0)
	v_cmp_ne_u32_e32 vcc_lo, 1, v9
	v_cmpx_eq_u32_e32 1, v9
	s_cbranch_execz .LBB4_1186
; %bb.1185:                             ;   in Loop: Header=BB4_1165 Depth=2
	flat_load_b32 v38, v[48:49] offset:4 glc
	s_waitcnt vmcnt(0) lgkmcnt(0)
	v_ashrrev_i32_e32 v39, 31, v38
	s_delay_alu instid0(VALU_DEP_1)
	v_lshrrev_b64 v[38:39], 3, v[38:39]
.LBB4_1186:                             ;   in Loop: Header=BB4_1165 Depth=2
	s_or_b32 exec_lo, exec_lo, s20
	s_delay_alu instid0(SALU_CYCLE_1)
	s_or_not1_b32 s13, vcc_lo, exec_lo
.LBB4_1187:                             ;   in Loop: Header=BB4_1165 Depth=2
	s_or_b32 exec_lo, exec_lo, s14
	s_and_saveexec_b32 s14, s13
; %bb.1188:                             ;   in Loop: Header=BB4_1165 Depth=2
	v_mad_i64_i32 v[38:39], null, v2, v81, 0
; %bb.1189:                             ;   in Loop: Header=BB4_1165 Depth=2
	s_or_b32 exec_lo, exec_lo, s14
	s_delay_alu instid0(VALU_DEP_1) | instskip(SKIP_2) | instid1(VALU_DEP_2)
	v_lshlrev_b64 v[38:39], 3, v[38:39]
	v_and_b32_e32 v2, 0x2000, v30
	s_mov_b32 s13, exec_lo
	v_add_co_u32 v38, vcc_lo, v24, v38
	s_delay_alu instid0(VALU_DEP_3)
	v_add_co_ci_u32_e32 v39, vcc_lo, v25, v39, vcc_lo
	ds_store_b64 v0, v[38:39] offset:720
	v_cmpx_ne_u32_e32 0, v2
	s_cbranch_execz .LBB4_1191
; %bb.1190:                             ;   in Loop: Header=BB4_1165 Depth=2
	ds_load_b64 v[38:39], v0 offset:584
	s_waitcnt lgkmcnt(0)
	v_add_co_u32 v38, vcc_lo, v38, 1
	v_add_co_ci_u32_e32 v39, vcc_lo, 0, v39, vcc_lo
	ds_store_b64 v0, v[38:39] offset:584
.LBB4_1191:                             ;   in Loop: Header=BB4_1165 Depth=2
	s_or_b32 exec_lo, exec_lo, s13
	v_add_co_u32 v22, vcc_lo, v22, 2
	v_add_co_ci_u32_e32 v23, vcc_lo, 0, v23, vcc_lo
.LBB4_1192:                             ;   in Loop: Header=BB4_1165 Depth=2
	s_or_b32 exec_lo, exec_lo, s6
	s_and_saveexec_b32 s6, s3
	s_cbranch_execz .LBB4_1214
; %bb.1193:                             ;   in Loop: Header=BB4_1165 Depth=2
	s_and_saveexec_b32 s13, s4
	s_delay_alu instid0(SALU_CYCLE_1)
	s_xor_b32 s13, exec_lo, s13
	s_cbranch_execz .LBB4_1211
; %bb.1194:                             ;   in Loop: Header=BB4_1165 Depth=2
	s_and_saveexec_b32 s14, s1
	s_cbranch_execz .LBB4_1210
; %bb.1195:                             ;   in Loop: Header=BB4_1165 Depth=2
	s_mov_b32 s28, exec_lo
	s_mov_b32 s20, exec_lo
	v_mbcnt_lo_u32_b32 v2, s28, 0
	s_waitcnt lgkmcnt(0)
	s_waitcnt_vscnt null, 0x0
	buffer_gl1_inv
	buffer_gl0_inv
	v_cmpx_eq_u32_e32 0, v2
	s_cbranch_execz .LBB4_1197
; %bb.1196:                             ;   in Loop: Header=BB4_1165 Depth=2
	s_bcnt1_i32_b32 s28, s28
	s_delay_alu instid0(SALU_CYCLE_1)
	v_mov_b32_e32 v2, s28
	ds_add_u64 v0, v[2:3]
	s_cbranch_execnz .LBB4_1738
.LBB4_1197:                             ;   in Loop: Header=BB4_1165 Depth=2
	s_or_b32 exec_lo, exec_lo, s20
	s_cbranch_execnz .LBB4_1706
; %bb.1198:                             ;   in Loop: Header=BB4_1165 Depth=2
	ds_load_b64 v[38:39], v0
	v_add_co_u32 v12, vcc_lo, v12, v83
	v_add_co_ci_u32_e32 v13, vcc_lo, 0, v13, vcc_lo
	s_mov_b32 s20, exec_lo
	s_waitcnt lgkmcnt(0)
	s_delay_alu instid0(VALU_DEP_1)
	v_cmpx_lt_u64_e64 v[38:39], v[12:13]
	s_cbranch_execz .LBB4_1209
; %bb.1199:                             ;   in Loop: Header=BB4_1165 Depth=2
	s_mov_b32 s28, 0
	s_mov_b32 s36, 0
                                        ; implicit-def: $vcc_hi
                                        ; implicit-def: $sgpr35
	s_branch .LBB4_1201
.LBB4_1200:                             ;   in Loop: Header=BB4_1201 Depth=3
	s_or_b32 exec_lo, exec_lo, s38
	s_delay_alu instid0(SALU_CYCLE_1) | instskip(NEXT) | instid1(SALU_CYCLE_1)
	s_and_b32 vcc_lo, exec_lo, vcc_lo
	s_or_b32 s28, vcc_lo, s28
	s_and_not1_b32 vcc_lo, vcc_hi, exec_lo
	s_and_b32 vcc_hi, s35, exec_lo
	s_delay_alu instid0(SALU_CYCLE_1)
	s_or_b32 vcc_hi, vcc_lo, vcc_hi
	s_and_not1_b32 exec_lo, exec_lo, s28
	s_cbranch_execz .LBB4_1207
.LBB4_1201:                             ;   Parent Loop BB4_51 Depth=1
                                        ;     Parent Loop BB4_1165 Depth=2
                                        ; =>    This Inner Loop Header: Depth=3
	s_add_i32 s36, s36, 1
                                        ; implicit-def: $sgpr38
	s_delay_alu instid0(SALU_CYCLE_1) | instskip(SKIP_1) | instid1(SALU_CYCLE_1)
	s_cmpk_lg_i32 s36, 0x2710
	s_cselect_b32 s37, -1, 0
	s_and_b32 vcc_lo, exec_lo, s37
	s_cbranch_vccz .LBB4_1205
.LBB4_1202:                             ;   in Loop: Header=BB4_1201 Depth=3
	s_and_not1_b32 s35, s35, exec_lo
	s_and_b32 s38, s38, exec_lo
	s_mov_b32 vcc_lo, -1
	s_or_b32 s35, s35, s38
	s_and_saveexec_b32 s38, s37
	s_cbranch_execz .LBB4_1200
; %bb.1203:                             ;   in Loop: Header=BB4_1201 Depth=3
	s_sleep 1
	s_cbranch_execnz .LBB4_1788
; %bb.1204:                             ;   in Loop: Header=BB4_1201 Depth=3
	ds_load_b64 v[38:39], v0
	s_and_not1_b32 s35, s35, exec_lo
	s_waitcnt lgkmcnt(0)
	v_cmp_ge_u64_e32 vcc_lo, v[38:39], v[12:13]
	s_or_not1_b32 vcc_lo, vcc_lo, exec_lo
	s_branch .LBB4_1200
.LBB4_1205:                             ;   in Loop: Header=BB4_1201 Depth=3
	s_cbranch_execnz .LBB4_1804
; %bb.1206:                             ;   in Loop: Header=BB4_1201 Depth=3
	ds_load_b64 v[38:39], v0
	s_and_not1_b32 s37, s37, exec_lo
	s_mov_b32 s36, 0
	s_mov_b32 s38, -1
	s_waitcnt lgkmcnt(0)
	flat_load_b32 v2, v[38:39] glc
	s_waitcnt vmcnt(0) lgkmcnt(0)
	buffer_gl1_inv
	buffer_gl0_inv
	v_cmp_eq_u32_e32 vcc_lo, 0, v2
	s_and_b32 vcc_lo, vcc_lo, exec_lo
	s_delay_alu instid0(SALU_CYCLE_1)
	s_or_b32 s37, s37, vcc_lo
	s_branch .LBB4_1202
.LBB4_1207:                             ;   in Loop: Header=BB4_1165 Depth=2
	s_or_b32 exec_lo, exec_lo, s28
	s_and_saveexec_b32 s28, vcc_hi
	s_delay_alu instid0(SALU_CYCLE_1)
	s_xor_b32 s28, exec_lo, s28
	s_cbranch_execz .LBB4_1209
; %bb.1208:                             ;   in Loop: Header=BB4_1165 Depth=2
	ds_store_b32 v0, v128
	s_cbranch_execnz .LBB4_1924
.LBB4_1209:                             ;   in Loop: Header=BB4_1165 Depth=2
	s_or_b32 exec_lo, exec_lo, s20
	;;#ASMSTART
	s_wakeup
	;;#ASMEND
.LBB4_1210:                             ;   in Loop: Header=BB4_1165 Depth=2
	s_or_b32 exec_lo, exec_lo, s14
.LBB4_1211:                             ;   in Loop: Header=BB4_1165 Depth=2
	s_and_not1_saveexec_b32 s13, s13
	s_cbranch_execz .LBB4_1213
; %bb.1212:                             ;   in Loop: Header=BB4_1165 Depth=2
	s_waitcnt lgkmcnt(0)
	s_waitcnt_vscnt null, 0x0
	buffer_gl1_inv
	buffer_gl0_inv
	s_barrier
.LBB4_1213:                             ;   in Loop: Header=BB4_1165 Depth=2
	s_or_b32 exec_lo, exec_lo, s13
.LBB4_1214:                             ;   in Loop: Header=BB4_1165 Depth=2
	s_delay_alu instid0(SALU_CYCLE_1)
	s_or_b32 exec_lo, exec_lo, s6
	s_cbranch_execnz .LBB4_1574
; %bb.1215:                             ;   in Loop: Header=BB4_1165 Depth=2
	ds_load_b32 v38, v0
	v_and_b32_e32 v2, 0x4000, v30
	s_xor_b32 s6, s2, -1
	s_delay_alu instid0(VALU_DEP_1) | instskip(SKIP_1) | instid1(SALU_CYCLE_1)
	v_cmp_ne_u32_e32 vcc_lo, 0, v2
	s_and_b32 s13, s6, vcc_lo
	s_and_saveexec_b32 s6, s13
	s_cbranch_execz .LBB4_1237
; %bb.1216:                             ;   in Loop: Header=BB4_1165 Depth=2
	s_and_saveexec_b32 s13, s4
	s_delay_alu instid0(SALU_CYCLE_1)
	s_xor_b32 s13, exec_lo, s13
	s_cbranch_execz .LBB4_1234
; %bb.1217:                             ;   in Loop: Header=BB4_1165 Depth=2
	s_and_saveexec_b32 s14, s1
	s_cbranch_execz .LBB4_1233
; %bb.1218:                             ;   in Loop: Header=BB4_1165 Depth=2
	s_mov_b32 s28, exec_lo
	s_mov_b32 s20, exec_lo
	v_mbcnt_lo_u32_b32 v2, s28, 0
	s_waitcnt lgkmcnt(0)
	s_waitcnt_vscnt null, 0x0
	buffer_gl1_inv
	buffer_gl0_inv
	v_cmpx_eq_u32_e32 0, v2
	s_cbranch_execz .LBB4_1220
; %bb.1219:                             ;   in Loop: Header=BB4_1165 Depth=2
	s_bcnt1_i32_b32 s28, s28
	s_delay_alu instid0(SALU_CYCLE_1)
	v_mov_b32_e32 v2, s28
	ds_add_u64 v0, v[2:3]
	s_cbranch_execnz .LBB4_1780
.LBB4_1220:                             ;   in Loop: Header=BB4_1165 Depth=2
	s_or_b32 exec_lo, exec_lo, s20
	s_cbranch_execnz .LBB4_1760
; %bb.1221:                             ;   in Loop: Header=BB4_1165 Depth=2
	ds_load_b64 v[48:49], v0
	v_add_co_u32 v12, vcc_lo, v12, v83
	v_add_co_ci_u32_e32 v13, vcc_lo, 0, v13, vcc_lo
	s_mov_b32 s20, exec_lo
	s_waitcnt lgkmcnt(0)
	s_delay_alu instid0(VALU_DEP_1)
	v_cmpx_lt_u64_e64 v[48:49], v[12:13]
	s_cbranch_execz .LBB4_1232
; %bb.1222:                             ;   in Loop: Header=BB4_1165 Depth=2
	s_mov_b32 s28, 0
	s_mov_b32 s36, 0
                                        ; implicit-def: $vcc_hi
                                        ; implicit-def: $sgpr35
	s_branch .LBB4_1224
.LBB4_1223:                             ;   in Loop: Header=BB4_1224 Depth=3
	s_or_b32 exec_lo, exec_lo, s38
	s_delay_alu instid0(SALU_CYCLE_1) | instskip(NEXT) | instid1(SALU_CYCLE_1)
	s_and_b32 vcc_lo, exec_lo, vcc_lo
	s_or_b32 s28, vcc_lo, s28
	s_and_not1_b32 vcc_lo, vcc_hi, exec_lo
	s_and_b32 vcc_hi, s35, exec_lo
	s_delay_alu instid0(SALU_CYCLE_1)
	s_or_b32 vcc_hi, vcc_lo, vcc_hi
	s_and_not1_b32 exec_lo, exec_lo, s28
	s_cbranch_execz .LBB4_1230
.LBB4_1224:                             ;   Parent Loop BB4_51 Depth=1
                                        ;     Parent Loop BB4_1165 Depth=2
                                        ; =>    This Inner Loop Header: Depth=3
	s_add_i32 s36, s36, 1
                                        ; implicit-def: $sgpr38
	s_delay_alu instid0(SALU_CYCLE_1) | instskip(SKIP_1) | instid1(SALU_CYCLE_1)
	s_cmpk_lg_i32 s36, 0x2710
	s_cselect_b32 s37, -1, 0
	s_and_b32 vcc_lo, exec_lo, s37
	s_cbranch_vccz .LBB4_1228
.LBB4_1225:                             ;   in Loop: Header=BB4_1224 Depth=3
	s_and_not1_b32 s35, s35, exec_lo
	s_and_b32 s38, s38, exec_lo
	s_mov_b32 vcc_lo, -1
	s_or_b32 s35, s35, s38
	s_and_saveexec_b32 s38, s37
	s_cbranch_execz .LBB4_1223
; %bb.1226:                             ;   in Loop: Header=BB4_1224 Depth=3
	s_sleep 1
	s_cbranch_execnz .LBB4_1842
; %bb.1227:                             ;   in Loop: Header=BB4_1224 Depth=3
	ds_load_b64 v[48:49], v0
	s_and_not1_b32 s35, s35, exec_lo
	s_waitcnt lgkmcnt(0)
	v_cmp_ge_u64_e32 vcc_lo, v[48:49], v[12:13]
	s_or_not1_b32 vcc_lo, vcc_lo, exec_lo
	s_branch .LBB4_1223
.LBB4_1228:                             ;   in Loop: Header=BB4_1224 Depth=3
	s_cbranch_execnz .LBB4_1854
; %bb.1229:                             ;   in Loop: Header=BB4_1224 Depth=3
	ds_load_b64 v[48:49], v0
	s_and_not1_b32 s37, s37, exec_lo
	s_mov_b32 s36, 0
	s_mov_b32 s38, -1
	s_waitcnt lgkmcnt(0)
	flat_load_b32 v2, v[48:49] glc
	s_waitcnt vmcnt(0) lgkmcnt(0)
	buffer_gl1_inv
	buffer_gl0_inv
	v_cmp_eq_u32_e32 vcc_lo, 0, v2
	s_and_b32 vcc_lo, vcc_lo, exec_lo
	s_delay_alu instid0(SALU_CYCLE_1)
	s_or_b32 s37, s37, vcc_lo
	s_branch .LBB4_1225
.LBB4_1230:                             ;   in Loop: Header=BB4_1165 Depth=2
	s_or_b32 exec_lo, exec_lo, s28
	s_and_saveexec_b32 s28, vcc_hi
	s_delay_alu instid0(SALU_CYCLE_1)
	s_xor_b32 s28, exec_lo, s28
	s_cbranch_execz .LBB4_1232
; %bb.1231:                             ;   in Loop: Header=BB4_1165 Depth=2
	ds_store_b32 v0, v128
	s_cbranch_execnz .LBB4_1940
.LBB4_1232:                             ;   in Loop: Header=BB4_1165 Depth=2
	s_or_b32 exec_lo, exec_lo, s20
	;;#ASMSTART
	s_wakeup
	;;#ASMEND
.LBB4_1233:                             ;   in Loop: Header=BB4_1165 Depth=2
	s_or_b32 exec_lo, exec_lo, s14
.LBB4_1234:                             ;   in Loop: Header=BB4_1165 Depth=2
	s_and_not1_saveexec_b32 s13, s13
	s_cbranch_execz .LBB4_1236
; %bb.1235:                             ;   in Loop: Header=BB4_1165 Depth=2
	s_waitcnt lgkmcnt(0)
	s_waitcnt_vscnt null, 0x0
	buffer_gl1_inv
	buffer_gl0_inv
	s_barrier
.LBB4_1236:                             ;   in Loop: Header=BB4_1165 Depth=2
	s_or_b32 exec_lo, exec_lo, s13
.LBB4_1237:                             ;   in Loop: Header=BB4_1165 Depth=2
	s_delay_alu instid0(SALU_CYCLE_1)
	s_or_b32 exec_lo, exec_lo, s6
	s_cbranch_execnz .LBB4_1632
; %bb.1238:                             ;   in Loop: Header=BB4_1165 Depth=2
	ds_load_b64 v[48:49], v0
	v_sub_nc_u32_e32 v2, v50, v8
	v_mov_b32_e32 v9, 0
	s_delay_alu instid0(VALU_DEP_2) | instskip(SKIP_3) | instid1(SALU_CYCLE_1)
	v_min_i32_e32 v51, v51, v2
	s_waitcnt lgkmcnt(0)
	v_cmp_eq_u64_e32 vcc_lo, 0, v[48:49]
	s_or_b32 s6, vcc_lo, vcc_lo
	s_and_b32 vcc_lo, exec_lo, s6
	s_cbranch_vccnz .LBB4_1273
; %bb.1239:                             ;   in Loop: Header=BB4_1165 Depth=2
	s_mov_b32 s6, -1
	s_mov_b32 s13, exec_lo
	v_readlane_b32 s14, v42, 3
	s_delay_alu instid0(VALU_DEP_1) | instskip(NEXT) | instid1(SALU_CYCLE_1)
	s_and_b32 s14, s13, s14
	s_mov_b32 exec_lo, s14
	s_cbranch_execz .LBB4_1241
; %bb.1240:                             ;   in Loop: Header=BB4_1165 Depth=2
	ds_load_b32 v2, v0 offset:720
	s_waitcnt lgkmcnt(0)
	v_and_b32_e32 v2, 15, v2
	s_delay_alu instid0(VALU_DEP_1)
	v_cmp_eq_u32_e32 vcc_lo, 0, v2
	s_or_not1_b32 s6, vcc_lo, exec_lo
.LBB4_1241:                             ;   in Loop: Header=BB4_1165 Depth=2
	s_or_b32 exec_lo, exec_lo, s13
	s_and_saveexec_b32 s13, s5
	s_cbranch_execz .LBB4_1243
; %bb.1242:                             ;   in Loop: Header=BB4_1165 Depth=2
	ds_load_b32 v2, v0 offset:784
	s_waitcnt lgkmcnt(0)
	v_and_b32_e32 v2, 15, v2
	s_delay_alu instid0(VALU_DEP_1) | instskip(SKIP_3) | instid1(SALU_CYCLE_1)
	v_cmp_eq_u32_e32 vcc_lo, 0, v2
	s_and_b32 s14, s6, vcc_lo
	s_and_not1_b32 s6, s6, exec_lo
	s_and_b32 s14, s14, exec_lo
	s_or_b32 s6, s6, s14
.LBB4_1243:                             ;   in Loop: Header=BB4_1165 Depth=2
	s_or_b32 exec_lo, exec_lo, s13
	v_cmp_eq_u32_e32 vcc_lo, 0, v38
	s_xor_b32 s6, s6, -1
	s_mov_b32 s13, -1
	v_cndmask_b32_e64 v2, 0, 1, s6
	;;#ASMSTART
	;;#ASMEND
	v_dual_cndmask_b32 v9, 0, v51 :: v_dual_mov_b32 v48, 0
	s_delay_alu instid0(VALU_DEP_2) | instskip(NEXT) | instid1(VALU_DEP_2)
	v_cmp_ne_u32_e32 vcc_lo, 0, v2
	v_lshlrev_b32_e32 v2, 3, v9
	s_cbranch_vccz .LBB4_1245
; %bb.1244:                             ;   in Loop: Header=BB4_1165 Depth=2
	v_mov_b32_e32 v49, v0
	v_mov_b32_e32 v64, v84
	s_branch .LBB4_1260
.LBB4_1245:                             ;   in Loop: Header=BB4_1165 Depth=2
	s_delay_alu instid0(VALU_DEP_1) | instskip(SKIP_1) | instid1(VALU_DEP_1)
	v_ashrrev_i32_e32 v38, 31, v2
	s_mov_b32 s6, exec_lo
	v_lshrrev_b32_e32 v38, 21, v38
	s_delay_alu instid0(VALU_DEP_1) | instskip(NEXT) | instid1(VALU_DEP_1)
	v_add_nc_u32_e32 v38, v2, v38
	v_ashrrev_i32_e32 v52, 11, v38
	s_delay_alu instid0(VALU_DEP_1) | instskip(NEXT) | instid1(VALU_DEP_1)
	v_sub_nc_u32_e32 v53, v52, v84
	v_cmpx_lt_i32_e32 0, v53
	s_cbranch_execz .LBB4_1250
; %bb.1246:                             ;   in Loop: Header=BB4_1165 Depth=2
	s_cbranch_execnz .LBB4_1808
; %bb.1247:                             ;   in Loop: Header=BB4_1165 Depth=2
	ds_load_b64 v[38:39], v0
	s_mov_b32 s14, 0
	s_waitcnt lgkmcnt(0)
	v_dual_mov_b32 v49, v39 :: v_dual_mov_b32 v48, v38
	s_set_inst_prefetch_distance 0x1
.LBB4_1248:                             ;   Parent Loop BB4_51 Depth=1
                                        ;     Parent Loop BB4_1165 Depth=2
                                        ; =>    This Inner Loop Header: Depth=3
	s_delay_alu instid0(VALU_DEP_1) | instskip(NEXT) | instid1(VALU_DEP_2)
	v_add_co_u32 v54, vcc_lo, v86, v48
	v_add_co_ci_u32_e32 v55, vcc_lo, v96, v49, vcc_lo
	v_sub_nc_u32_e32 v53, v53, v83
	s_clause 0x3
	global_load_b128 v[64:67], v[54:55], off slc dlc
	global_load_b128 v[68:71], v[54:55], off offset:512 slc dlc
	global_load_b128 v[129:132], v[54:55], off offset:1024 slc dlc
	global_load_b128 v[144:147], v[54:55], off offset:1536 slc dlc
	v_add_co_u32 v54, vcc_lo, v86, v38
	v_add_co_ci_u32_e32 v55, vcc_lo, v96, v39, vcc_lo
	v_add_co_u32 v48, vcc_lo, v48, v99
	v_add_co_ci_u32_e32 v49, vcc_lo, v49, v100, vcc_lo
	v_add_co_u32 v38, vcc_lo, v38, v99
	v_cmp_gt_i32_e64 s13, 1, v53
	v_add_co_ci_u32_e32 v39, vcc_lo, v39, v100, vcc_lo
	s_waitcnt vmcnt(3)
	global_store_b128 v[54:55], v[64:67], off glc slc dlc
	s_waitcnt vmcnt(2)
	global_store_b128 v[54:55], v[68:71], off offset:512 glc slc dlc
	s_waitcnt vmcnt(1)
	global_store_b128 v[54:55], v[129:132], off offset:1024 glc slc dlc
	;; [unrolled: 2-line block ×3, first 2 shown]
	s_or_b32 s14, s13, s14
	s_delay_alu instid0(SALU_CYCLE_1)
	s_and_not1_b32 exec_lo, exec_lo, s14
	s_cbranch_execnz .LBB4_1248
; %bb.1249:                             ;   in Loop: Header=BB4_1165 Depth=2
	s_set_inst_prefetch_distance 0x2
	s_or_b32 exec_lo, exec_lo, s14
.LBB4_1250:                             ;   in Loop: Header=BB4_1165 Depth=2
	s_delay_alu instid0(SALU_CYCLE_1) | instskip(SKIP_4) | instid1(VALU_DEP_2)
	s_or_b32 exec_lo, exec_lo, s6
	v_lshlrev_b32_e32 v52, 11, v52
	v_mov_b32_e32 v48, 0
	s_mov_b32 s13, 0
	s_mov_b32 s6, exec_lo
                                        ; implicit-def: $vgpr49
                                        ; implicit-def: $vgpr64
	v_cmpx_ne_u32_e64 v2, v52
	s_cbranch_execz .LBB4_1259
; %bb.1251:                             ;   in Loop: Header=BB4_1165 Depth=2
	v_lshlrev_b32_e32 v38, 5, v53
	v_sub_nc_u32_e32 v48, v2, v52
	s_mov_b32 s20, exec_lo
	s_delay_alu instid0(VALU_DEP_2) | instskip(NEXT) | instid1(VALU_DEP_2)
	v_sub_nc_u32_e32 v38, v85, v38
	v_ashrrev_i32_e32 v49, 31, v48
	s_delay_alu instid0(VALU_DEP_2) | instskip(NEXT) | instid1(VALU_DEP_2)
	v_ashrrev_i32_e32 v39, 31, v38
	v_lshrrev_b32_e32 v49, 23, v49
	s_delay_alu instid0(VALU_DEP_2) | instskip(NEXT) | instid1(VALU_DEP_2)
	v_lshrrev_b32_e32 v39, 27, v39
	v_add_nc_u32_e32 v49, v48, v49
	s_delay_alu instid0(VALU_DEP_2) | instskip(NEXT) | instid1(VALU_DEP_2)
	v_add_nc_u32_e32 v39, v38, v39
	v_ashrrev_i32_e32 v64, 9, v49
	s_delay_alu instid0(VALU_DEP_2) | instskip(NEXT) | instid1(VALU_DEP_1)
	v_and_b32_e32 v53, 0xffffffe0, v39
	v_sub_nc_u32_e32 v54, v38, v53
	v_and_b32_e32 v53, 0xfffffe00, v49
	v_ashrrev_i32_e32 v38, 5, v39
	s_delay_alu instid0(VALU_DEP_3) | instskip(NEXT) | instid1(VALU_DEP_3)
	v_lshlrev_b32_e32 v39, 4, v54
	v_sub_nc_u32_e32 v55, v48, v53
	s_delay_alu instid0(VALU_DEP_2) | instskip(NEXT) | instid1(VALU_DEP_2)
	v_lshl_add_u32 v49, v38, 9, v39
	v_cmp_lt_i32_e32 vcc_lo, 15, v55
	s_delay_alu instid0(VALU_DEP_2) | instskip(SKIP_1) | instid1(VALU_DEP_1)
	v_sub_nc_u32_e32 v48, v48, v49
	v_add_co_ci_u32_e64 v39, s13, 0, v64, vcc_lo
	v_sub_nc_u32_e32 v65, v39, v38
	s_delay_alu instid0(VALU_DEP_3)
	v_cmpx_lt_i32_e32 15, v48
	s_cbranch_execz .LBB4_1256
; %bb.1252:                             ;   in Loop: Header=BB4_1165 Depth=2
	s_cbranch_execnz .LBB4_1866
; %bb.1253:                             ;   in Loop: Header=BB4_1165 Depth=2
	ds_load_b64 v[38:39], v0
	v_add_nc_u32_e32 v49, v49, v52
	s_mov_b32 s28, 0
	s_delay_alu instid0(VALU_DEP_1)
	v_ashrrev_i32_e32 v64, 31, v49
.LBB4_1254:                             ;   Parent Loop BB4_51 Depth=1
                                        ;     Parent Loop BB4_1165 Depth=2
                                        ; =>    This Inner Loop Header: Depth=3
	s_waitcnt lgkmcnt(0)
	v_add_co_u32 v70, s13, v38, v49
	s_delay_alu instid0(VALU_DEP_1)
	v_add_co_ci_u32_e64 v71, s13, v39, v64, s13
	v_sub_nc_u32_e32 v48, v48, v87
	v_add_co_u32 v49, s14, v49, v103
	global_load_b128 v[66:69], v[70:71], off slc dlc
	v_sub_nc_u32_e32 v65, v65, v83
	v_cmp_gt_i32_e64 s13, 16, v48
	v_add_co_ci_u32_e64 v64, s14, v64, v112, s14
	s_delay_alu instid0(VALU_DEP_2)
	s_or_b32 s28, s13, s28
	s_waitcnt vmcnt(0)
	global_store_b128 v[70:71], v[66:69], off glc slc dlc
	s_and_not1_b32 exec_lo, exec_lo, s28
	s_cbranch_execnz .LBB4_1254
; %bb.1255:                             ;   in Loop: Header=BB4_1165 Depth=2
	s_or_b32 exec_lo, exec_lo, s28
.LBB4_1256:                             ;   in Loop: Header=BB4_1165 Depth=2
	s_delay_alu instid0(SALU_CYCLE_1) | instskip(SKIP_4) | instid1(VALU_DEP_2)
	s_or_b32 exec_lo, exec_lo, s20
	v_and_b32_e32 v38, 8, v2
	v_mov_b32_e32 v48, 0
	s_mov_b32 s14, 0
	s_mov_b32 s20, exec_lo
                                        ; implicit-def: $vgpr49
                                        ; implicit-def: $vgpr64
	v_cndmask_b32_e32 v2, v55, v38, vcc_lo
	s_delay_alu instid0(VALU_DEP_1)
	v_cmpx_ne_u32_e32 0, v2
; %bb.1257:                             ;   in Loop: Header=BB4_1165 Depth=2
	v_cmp_lt_i32_e64 s13, 0, v65
	v_sub_nc_u32_e32 v38, v55, v38
	s_mov_b32 s14, exec_lo
	s_delay_alu instid0(VALU_DEP_2) | instskip(NEXT) | instid1(VALU_DEP_1)
	v_cndmask_b32_e64 v39, 0, v83, s13
	v_sub_nc_u32_e32 v39, v39, v65
	s_delay_alu instid0(VALU_DEP_1) | instskip(NEXT) | instid1(VALU_DEP_1)
	v_lshl_add_u32 v49, v39, 5, v54
	v_ashrrev_i32_e32 v39, 31, v49
	s_delay_alu instid0(VALU_DEP_1) | instskip(NEXT) | instid1(VALU_DEP_1)
	v_lshrrev_b32_e32 v39, 27, v39
	v_dual_cndmask_b32 v38, 0, v38 :: v_dual_add_nc_u32 v39, v49, v39
	s_delay_alu instid0(VALU_DEP_1) | instskip(NEXT) | instid1(VALU_DEP_2)
	v_add3_u32 v48, v53, v52, v38
	v_ashrrev_i32_e32 v64, 5, v39
; %bb.1258:                             ;   in Loop: Header=BB4_1165 Depth=2
	s_or_b32 exec_lo, exec_lo, s20
	s_delay_alu instid0(SALU_CYCLE_1)
	s_and_b32 s13, s14, exec_lo
.LBB4_1259:                             ;   in Loop: Header=BB4_1165 Depth=2
	s_or_b32 exec_lo, exec_lo, s6
.LBB4_1260:                             ;   in Loop: Header=BB4_1165 Depth=2
	s_and_saveexec_b32 s6, s13
	s_cbranch_execz .LBB4_1272
; %bb.1261:                             ;   in Loop: Header=BB4_1165 Depth=2
	v_ashrrev_i32_e32 v38, 31, v2
	s_mov_b32 s14, exec_lo
	s_delay_alu instid0(VALU_DEP_1) | instskip(NEXT) | instid1(VALU_DEP_1)
	v_lshrrev_b32_e32 v38, 23, v38
	v_add_nc_u32_e32 v38, v2, v38
	s_delay_alu instid0(VALU_DEP_1) | instskip(NEXT) | instid1(VALU_DEP_1)
	v_ashrrev_i32_e32 v53, 9, v38
	v_sub_nc_u32_e32 v52, v53, v64
	s_delay_alu instid0(VALU_DEP_1)
	v_cmpx_lt_i32_e32 0, v52
	s_cbranch_execz .LBB4_1266
; %bb.1262:                             ;   in Loop: Header=BB4_1165 Depth=2
	s_cbranch_execnz .LBB4_1800
; %bb.1263:                             ;   in Loop: Header=BB4_1165 Depth=2
	v_ashrrev_i32_e32 v38, 31, v49
	v_lshlrev_b32_e32 v55, 9, v64
	s_mov_b32 s20, 0
	s_delay_alu instid0(VALU_DEP_2) | instskip(NEXT) | instid1(VALU_DEP_1)
	v_lshrrev_b32_e32 v38, 27, v38
	v_add_nc_u32_e32 v38, v49, v38
	s_delay_alu instid0(VALU_DEP_1) | instskip(NEXT) | instid1(VALU_DEP_1)
	v_and_b32_e32 v38, 0x1fffffe0, v38
	v_sub_nc_u32_e32 v54, v49, v38
	ds_load_b64 v[38:39], v0
	v_lshlrev_b32_e32 v54, 3, v54
	s_delay_alu instid0(VALU_DEP_1) | instskip(NEXT) | instid1(VALU_DEP_1)
	v_add3_u32 v54, v54, v48, v55
	v_ashrrev_i32_e32 v55, 31, v54
.LBB4_1264:                             ;   Parent Loop BB4_51 Depth=1
                                        ;     Parent Loop BB4_1165 Depth=2
                                        ; =>    This Inner Loop Header: Depth=3
	s_waitcnt lgkmcnt(0)
	v_add_co_u32 v64, vcc_lo, v38, v54
	s_delay_alu instid0(VALU_DEP_2)
	v_add_co_ci_u32_e32 v65, vcc_lo, v39, v55, vcc_lo
	v_sub_nc_u32_e32 v52, v52, v83
	v_add_co_u32 v54, s13, v54, v103
	s_clause 0x1
	flat_load_b64 v[66:67], v[64:65] slc dlc
	flat_load_b64 v[68:69], v[64:65] offset:256 slc dlc
	v_add_co_ci_u32_e64 v55, s13, v55, v112, s13
	v_cmp_gt_i32_e32 vcc_lo, 1, v52
	s_waitcnt vmcnt(1) lgkmcnt(1)
	flat_store_b64 v[64:65], v[66:67] glc slc dlc
	s_waitcnt vmcnt(0) lgkmcnt(1)
	flat_store_b64 v[64:65], v[68:69] offset:256 glc slc dlc
	s_or_b32 s20, vcc_lo, s20
	s_delay_alu instid0(SALU_CYCLE_1)
	s_and_not1_b32 exec_lo, exec_lo, s20
	s_cbranch_execnz .LBB4_1264
; %bb.1265:                             ;   in Loop: Header=BB4_1165 Depth=2
	s_or_b32 exec_lo, exec_lo, s20
.LBB4_1266:                             ;   in Loop: Header=BB4_1165 Depth=2
	s_delay_alu instid0(SALU_CYCLE_1) | instskip(SKIP_2) | instid1(VALU_DEP_1)
	s_or_b32 exec_lo, exec_lo, s14
	v_lshlrev_b32_e32 v38, 9, v53
	s_mov_b32 s14, exec_lo
	v_cmpx_ne_u32_e64 v2, v38
	s_cbranch_execz .LBB4_1271
; %bb.1267:                             ;   in Loop: Header=BB4_1165 Depth=2
	v_ashrrev_i32_e32 v39, 31, v49
	s_delay_alu instid0(VALU_DEP_1) | instskip(NEXT) | instid1(VALU_DEP_1)
	v_lshrrev_b32_e32 v39, 27, v39
	v_add_nc_u32_e32 v39, v49, v39
	s_delay_alu instid0(VALU_DEP_1) | instskip(NEXT) | instid1(VALU_DEP_1)
	v_and_b32_e32 v39, 0xffffffe0, v39
	v_sub_nc_u32_e32 v39, v49, v39
	v_lshlrev_b32_e32 v49, 5, v52
	s_delay_alu instid0(VALU_DEP_1) | instskip(NEXT) | instid1(VALU_DEP_1)
	v_sub_nc_u32_e32 v39, v39, v49
	v_ashrrev_i32_e32 v49, 31, v39
	s_delay_alu instid0(VALU_DEP_1) | instskip(NEXT) | instid1(VALU_DEP_1)
	v_lshrrev_b32_e32 v49, 27, v49
	v_add_nc_u32_e32 v49, v39, v49
	s_delay_alu instid0(VALU_DEP_1) | instskip(SKIP_1) | instid1(VALU_DEP_2)
	v_and_b32_e32 v52, 0x1fffffe0, v49
	v_lshlrev_b32_e32 v49, 3, v49
	v_sub_nc_u32_e32 v39, v39, v52
	s_delay_alu instid0(VALU_DEP_2) | instskip(NEXT) | instid1(VALU_DEP_2)
	v_and_b32_e32 v49, 0xffffff00, v49
	v_lshlrev_b32_e32 v39, 3, v39
	s_delay_alu instid0(VALU_DEP_1) | instskip(NEXT) | instid1(VALU_DEP_1)
	v_add3_u32 v49, v49, v39, v38
	v_sub_nc_u32_e32 v2, v2, v49
	s_delay_alu instid0(VALU_DEP_1)
	v_cmp_lt_i32_e32 vcc_lo, 7, v2
	s_and_b32 exec_lo, exec_lo, vcc_lo
	s_cbranch_execz .LBB4_1271
; %bb.1268:                             ;   in Loop: Header=BB4_1165 Depth=2
	s_cbranch_execnz .LBB4_1860
; %bb.1269:                             ;   in Loop: Header=BB4_1165 Depth=2
	ds_load_b64 v[38:39], v0
	v_add_nc_u32_e32 v48, v49, v48
	s_mov_b32 s20, 0
	s_delay_alu instid0(VALU_DEP_1)
	v_ashrrev_i32_e32 v49, 31, v48
.LBB4_1270:                             ;   Parent Loop BB4_51 Depth=1
                                        ;     Parent Loop BB4_1165 Depth=2
                                        ; =>    This Inner Loop Header: Depth=3
	s_waitcnt lgkmcnt(0)
	v_add_co_u32 v52, vcc_lo, v38, v48
	s_delay_alu instid0(VALU_DEP_2)
	v_add_co_ci_u32_e32 v53, vcc_lo, v39, v49, vcc_lo
	v_sub_nc_u32_e32 v2, v2, v98
	v_add_co_u32 v48, s13, v48, v114
	flat_load_b64 v[54:55], v[52:53] slc dlc
	v_add_co_ci_u32_e64 v49, s13, v49, v115, s13
	v_cmp_gt_i32_e32 vcc_lo, 8, v2
	s_or_b32 s20, vcc_lo, s20
	s_waitcnt vmcnt(0) lgkmcnt(0)
	flat_store_b64 v[52:53], v[54:55] glc slc dlc
	s_and_not1_b32 exec_lo, exec_lo, s20
	s_cbranch_execnz .LBB4_1270
.LBB4_1271:                             ;   in Loop: Header=BB4_1165 Depth=2
	s_or_b32 exec_lo, exec_lo, s14
.LBB4_1272:                             ;   in Loop: Header=BB4_1165 Depth=2
	s_delay_alu instid0(SALU_CYCLE_1)
	s_or_b32 exec_lo, exec_lo, s6
.LBB4_1273:                             ;   in Loop: Header=BB4_1165 Depth=2
	s_and_saveexec_b32 s6, s3
	s_cbranch_execz .LBB4_1295
; %bb.1274:                             ;   in Loop: Header=BB4_1165 Depth=2
	s_and_saveexec_b32 s13, s4
	s_delay_alu instid0(SALU_CYCLE_1)
	s_xor_b32 s13, exec_lo, s13
	s_cbranch_execz .LBB4_1292
; %bb.1275:                             ;   in Loop: Header=BB4_1165 Depth=2
	s_and_saveexec_b32 s14, s1
	s_cbranch_execz .LBB4_1291
; %bb.1276:                             ;   in Loop: Header=BB4_1165 Depth=2
	s_mov_b32 s28, exec_lo
	s_mov_b32 s20, exec_lo
	v_mbcnt_lo_u32_b32 v2, s28, 0
	s_waitcnt lgkmcnt(0)
	s_waitcnt_vscnt null, 0x0
	buffer_gl1_inv
	buffer_gl0_inv
	v_cmpx_eq_u32_e32 0, v2
	s_cbranch_execz .LBB4_1278
; %bb.1277:                             ;   in Loop: Header=BB4_1165 Depth=2
	s_bcnt1_i32_b32 s28, s28
	s_delay_alu instid0(SALU_CYCLE_1)
	v_mov_b32_e32 v2, s28
	ds_add_u64 v0, v[2:3]
	s_cbranch_execnz .LBB4_1846
.LBB4_1278:                             ;   in Loop: Header=BB4_1165 Depth=2
	s_or_b32 exec_lo, exec_lo, s20
	s_cbranch_execnz .LBB4_1822
; %bb.1279:                             ;   in Loop: Header=BB4_1165 Depth=2
	ds_load_b64 v[38:39], v0
	v_add_co_u32 v12, vcc_lo, v12, v83
	v_add_co_ci_u32_e32 v13, vcc_lo, 0, v13, vcc_lo
	s_mov_b32 s20, exec_lo
	s_waitcnt lgkmcnt(0)
	s_delay_alu instid0(VALU_DEP_1)
	v_cmpx_lt_u64_e64 v[38:39], v[12:13]
	s_cbranch_execz .LBB4_1290
; %bb.1280:                             ;   in Loop: Header=BB4_1165 Depth=2
	s_mov_b32 s28, 0
	s_mov_b32 s36, 0
                                        ; implicit-def: $vcc_hi
                                        ; implicit-def: $sgpr35
	s_branch .LBB4_1282
.LBB4_1281:                             ;   in Loop: Header=BB4_1282 Depth=3
	s_or_b32 exec_lo, exec_lo, s38
	s_delay_alu instid0(SALU_CYCLE_1) | instskip(NEXT) | instid1(SALU_CYCLE_1)
	s_and_b32 vcc_lo, exec_lo, vcc_lo
	s_or_b32 s28, vcc_lo, s28
	s_and_not1_b32 vcc_lo, vcc_hi, exec_lo
	s_and_b32 vcc_hi, s35, exec_lo
	s_delay_alu instid0(SALU_CYCLE_1)
	s_or_b32 vcc_hi, vcc_lo, vcc_hi
	s_and_not1_b32 exec_lo, exec_lo, s28
	s_cbranch_execz .LBB4_1288
.LBB4_1282:                             ;   Parent Loop BB4_51 Depth=1
                                        ;     Parent Loop BB4_1165 Depth=2
                                        ; =>    This Inner Loop Header: Depth=3
	s_add_i32 s36, s36, 1
                                        ; implicit-def: $sgpr38
	s_delay_alu instid0(SALU_CYCLE_1) | instskip(SKIP_1) | instid1(SALU_CYCLE_1)
	s_cmpk_lg_i32 s36, 0x2710
	s_cselect_b32 s37, -1, 0
	s_and_b32 vcc_lo, exec_lo, s37
	s_cbranch_vccz .LBB4_1286
.LBB4_1283:                             ;   in Loop: Header=BB4_1282 Depth=3
	s_and_not1_b32 s35, s35, exec_lo
	s_and_b32 s38, s38, exec_lo
	s_mov_b32 vcc_lo, -1
	s_or_b32 s35, s35, s38
	s_and_saveexec_b32 s38, s37
	s_cbranch_execz .LBB4_1281
; %bb.1284:                             ;   in Loop: Header=BB4_1282 Depth=3
	s_sleep 1
	s_cbranch_execnz .LBB4_1878
; %bb.1285:                             ;   in Loop: Header=BB4_1282 Depth=3
	ds_load_b64 v[38:39], v0
	s_and_not1_b32 s35, s35, exec_lo
	s_waitcnt lgkmcnt(0)
	v_cmp_ge_u64_e32 vcc_lo, v[38:39], v[12:13]
	s_or_not1_b32 vcc_lo, vcc_lo, exec_lo
	s_branch .LBB4_1281
.LBB4_1286:                             ;   in Loop: Header=BB4_1282 Depth=3
	s_cbranch_execnz .LBB4_1890
; %bb.1287:                             ;   in Loop: Header=BB4_1282 Depth=3
	ds_load_b64 v[38:39], v0
	s_and_not1_b32 s37, s37, exec_lo
	s_mov_b32 s36, 0
	s_mov_b32 s38, -1
	s_waitcnt lgkmcnt(0)
	flat_load_b32 v2, v[38:39] glc
	s_waitcnt vmcnt(0) lgkmcnt(0)
	buffer_gl1_inv
	buffer_gl0_inv
	v_cmp_eq_u32_e32 vcc_lo, 0, v2
	s_and_b32 vcc_lo, vcc_lo, exec_lo
	s_delay_alu instid0(SALU_CYCLE_1)
	s_or_b32 s37, s37, vcc_lo
	s_branch .LBB4_1283
.LBB4_1288:                             ;   in Loop: Header=BB4_1165 Depth=2
	s_or_b32 exec_lo, exec_lo, s28
	s_and_saveexec_b32 s28, vcc_hi
	s_delay_alu instid0(SALU_CYCLE_1)
	s_xor_b32 s28, exec_lo, s28
	s_cbranch_execz .LBB4_1290
; %bb.1289:                             ;   in Loop: Header=BB4_1165 Depth=2
	ds_store_b32 v0, v128
	s_cbranch_execnz .LBB4_1944
.LBB4_1290:                             ;   in Loop: Header=BB4_1165 Depth=2
	s_or_b32 exec_lo, exec_lo, s20
	;;#ASMSTART
	s_wakeup
	;;#ASMEND
.LBB4_1291:                             ;   in Loop: Header=BB4_1165 Depth=2
	s_or_b32 exec_lo, exec_lo, s14
.LBB4_1292:                             ;   in Loop: Header=BB4_1165 Depth=2
	s_and_not1_saveexec_b32 s13, s13
	s_cbranch_execz .LBB4_1294
; %bb.1293:                             ;   in Loop: Header=BB4_1165 Depth=2
	s_waitcnt lgkmcnt(0)
	s_waitcnt_vscnt null, 0x0
	buffer_gl1_inv
	buffer_gl0_inv
	s_barrier
.LBB4_1294:                             ;   in Loop: Header=BB4_1165 Depth=2
	s_or_b32 exec_lo, exec_lo, s13
.LBB4_1295:                             ;   in Loop: Header=BB4_1165 Depth=2
	s_delay_alu instid0(SALU_CYCLE_1) | instskip(SKIP_1) | instid1(SALU_CYCLE_1)
	s_or_b32 exec_lo, exec_lo, s6
	s_and_saveexec_b32 s6, s7
	s_xor_b32 s6, exec_lo, s6
	s_cbranch_execz .LBB4_1299
; %bb.1296:                             ;   in Loop: Header=BB4_1165 Depth=2
	v_and_b32_e32 v2, 16, v30
	v_cmp_lt_i32_e32 vcc_lo, 0, v9
	s_delay_alu instid0(VALU_DEP_2) | instskip(NEXT) | instid1(VALU_DEP_1)
	v_cmp_ne_u32_e64 s13, 0, v2
	s_and_b32 s14, s13, vcc_lo
	s_delay_alu instid0(SALU_CYCLE_1)
	s_and_saveexec_b32 s13, s14
	s_cbranch_execz .LBB4_1298
; %bb.1297:                             ;   in Loop: Header=BB4_1165 Depth=2
	s_waitcnt lgkmcnt(0)
	s_waitcnt_vscnt null, 0x0
	buffer_gl1_inv
	buffer_gl0_inv
.LBB4_1298:                             ;   in Loop: Header=BB4_1165 Depth=2
	s_or_b32 exec_lo, exec_lo, s13
.LBB4_1299:                             ;   in Loop: Header=BB4_1165 Depth=2
	s_and_not1_saveexec_b32 s6, s6
	s_cbranch_execz .LBB4_1321
; %bb.1300:                             ;   in Loop: Header=BB4_1165 Depth=2
	s_and_saveexec_b32 s13, s4
	s_delay_alu instid0(SALU_CYCLE_1)
	s_xor_b32 s13, exec_lo, s13
	s_cbranch_execz .LBB4_1318
; %bb.1301:                             ;   in Loop: Header=BB4_1165 Depth=2
	s_and_saveexec_b32 s14, s1
	s_cbranch_execz .LBB4_1317
; %bb.1302:                             ;   in Loop: Header=BB4_1165 Depth=2
	s_mov_b32 s28, exec_lo
	s_mov_b32 s20, exec_lo
	v_mbcnt_lo_u32_b32 v2, s28, 0
	;;#ASMSTART
	s_waitcnt lgkmcnt(0) vmcnt(0)
	;;#ASMEND
	s_delay_alu instid0(VALU_DEP_1)
	v_cmpx_eq_u32_e32 0, v2
	s_cbranch_execz .LBB4_1304
; %bb.1303:                             ;   in Loop: Header=BB4_1165 Depth=2
	s_bcnt1_i32_b32 s28, s28
	s_delay_alu instid0(SALU_CYCLE_1)
	v_mov_b32_e32 v2, s28
	ds_add_u64 v0, v[2:3]
	s_cbranch_execnz .LBB4_1852
.LBB4_1304:                             ;   in Loop: Header=BB4_1165 Depth=2
	s_or_b32 exec_lo, exec_lo, s20
	s_cbranch_execnz .LBB4_1832
; %bb.1305:                             ;   in Loop: Header=BB4_1165 Depth=2
	ds_load_b64 v[38:39], v0
	v_add_co_u32 v12, vcc_lo, v12, v83
	v_add_co_ci_u32_e32 v13, vcc_lo, 0, v13, vcc_lo
	s_mov_b32 s20, exec_lo
	s_waitcnt lgkmcnt(0)
	s_delay_alu instid0(VALU_DEP_1)
	v_cmpx_lt_u64_e64 v[38:39], v[12:13]
	s_cbranch_execz .LBB4_1316
; %bb.1306:                             ;   in Loop: Header=BB4_1165 Depth=2
	s_mov_b32 s28, 0
	s_mov_b32 s36, 0
                                        ; implicit-def: $vcc_hi
                                        ; implicit-def: $sgpr35
	s_branch .LBB4_1308
.LBB4_1307:                             ;   in Loop: Header=BB4_1308 Depth=3
	s_or_b32 exec_lo, exec_lo, s38
	s_delay_alu instid0(SALU_CYCLE_1) | instskip(NEXT) | instid1(SALU_CYCLE_1)
	s_and_b32 vcc_lo, exec_lo, vcc_lo
	s_or_b32 s28, vcc_lo, s28
	s_and_not1_b32 vcc_lo, vcc_hi, exec_lo
	s_and_b32 vcc_hi, s35, exec_lo
	s_delay_alu instid0(SALU_CYCLE_1)
	s_or_b32 vcc_hi, vcc_lo, vcc_hi
	s_and_not1_b32 exec_lo, exec_lo, s28
	s_cbranch_execz .LBB4_1314
.LBB4_1308:                             ;   Parent Loop BB4_51 Depth=1
                                        ;     Parent Loop BB4_1165 Depth=2
                                        ; =>    This Inner Loop Header: Depth=3
	s_add_i32 s36, s36, 1
                                        ; implicit-def: $sgpr38
	s_delay_alu instid0(SALU_CYCLE_1) | instskip(SKIP_1) | instid1(SALU_CYCLE_1)
	s_cmpk_lg_i32 s36, 0x2710
	s_cselect_b32 s37, -1, 0
	s_and_b32 vcc_lo, exec_lo, s37
	s_cbranch_vccz .LBB4_1312
.LBB4_1309:                             ;   in Loop: Header=BB4_1308 Depth=3
	s_and_not1_b32 s35, s35, exec_lo
	s_and_b32 s38, s38, exec_lo
	s_mov_b32 vcc_lo, -1
	s_or_b32 s35, s35, s38
	s_and_saveexec_b32 s38, s37
	s_cbranch_execz .LBB4_1307
; %bb.1310:                             ;   in Loop: Header=BB4_1308 Depth=3
	s_sleep 1
	s_cbranch_execnz .LBB4_1884
; %bb.1311:                             ;   in Loop: Header=BB4_1308 Depth=3
	ds_load_b64 v[38:39], v0
	s_and_not1_b32 s35, s35, exec_lo
	s_waitcnt lgkmcnt(0)
	v_cmp_ge_u64_e32 vcc_lo, v[38:39], v[12:13]
	s_or_not1_b32 vcc_lo, vcc_lo, exec_lo
	s_branch .LBB4_1307
.LBB4_1312:                             ;   in Loop: Header=BB4_1308 Depth=3
	s_cbranch_execnz .LBB4_1898
; %bb.1313:                             ;   in Loop: Header=BB4_1308 Depth=3
	ds_load_b64 v[38:39], v0
	s_and_not1_b32 s37, s37, exec_lo
	s_mov_b32 s36, 0
	s_mov_b32 s38, -1
	s_waitcnt lgkmcnt(0)
	s_waitcnt_vscnt null, 0x0
	flat_load_b32 v2, v[38:39] glc
	s_waitcnt vmcnt(0) lgkmcnt(0)
	buffer_gl1_inv
	buffer_gl0_inv
	v_cmp_eq_u32_e32 vcc_lo, 0, v2
	s_and_b32 vcc_lo, vcc_lo, exec_lo
	s_delay_alu instid0(SALU_CYCLE_1)
	s_or_b32 s37, s37, vcc_lo
	s_branch .LBB4_1309
.LBB4_1314:                             ;   in Loop: Header=BB4_1165 Depth=2
	s_or_b32 exec_lo, exec_lo, s28
	s_and_saveexec_b32 s28, vcc_hi
	s_delay_alu instid0(SALU_CYCLE_1)
	s_xor_b32 s28, exec_lo, s28
	s_cbranch_execz .LBB4_1316
; %bb.1315:                             ;   in Loop: Header=BB4_1165 Depth=2
	ds_store_b32 v0, v128
	s_cbranch_execnz .LBB4_1946
.LBB4_1316:                             ;   in Loop: Header=BB4_1165 Depth=2
	s_or_b32 exec_lo, exec_lo, s20
	;;#ASMSTART
	s_wakeup
	;;#ASMEND
.LBB4_1317:                             ;   in Loop: Header=BB4_1165 Depth=2
	s_or_b32 exec_lo, exec_lo, s14
.LBB4_1318:                             ;   in Loop: Header=BB4_1165 Depth=2
	s_and_not1_saveexec_b32 s13, s13
	s_cbranch_execz .LBB4_1320
; %bb.1319:                             ;   in Loop: Header=BB4_1165 Depth=2
	;;#ASMSTART
	s_waitcnt lgkmcnt(0) vmcnt(0)
	;;#ASMEND
	s_waitcnt lgkmcnt(0)
	s_waitcnt_vscnt null, 0x0
	s_barrier
.LBB4_1320:                             ;   in Loop: Header=BB4_1165 Depth=2
	s_or_b32 exec_lo, exec_lo, s13
.LBB4_1321:                             ;   in Loop: Header=BB4_1165 Depth=2
	s_delay_alu instid0(SALU_CYCLE_1) | instskip(SKIP_2) | instid1(VALU_DEP_1)
	s_or_b32 exec_lo, exec_lo, s6
	v_and_b32_e32 v2, 32, v30
	s_mov_b32 s6, exec_lo
	v_cmpx_ne_u32_e32 0, v2
	s_cbranch_execz .LBB4_1323
; %bb.1322:                             ;   in Loop: Header=BB4_1165 Depth=2
	v_add_co_u32 v22, vcc_lo, v22, 2
	v_add_co_ci_u32_e32 v23, vcc_lo, 0, v23, vcc_lo
	s_waitcnt lgkmcnt(0)
	s_waitcnt_vscnt null, 0x0
	flat_store_b64 v[20:21], v[22:23]
.LBB4_1323:                             ;   in Loop: Header=BB4_1165 Depth=2
	s_or_b32 exec_lo, exec_lo, s6
	v_add_nc_u32_e32 v8, v51, v8
	s_xor_b32 s6, s31, -1
	v_mov_b32_e32 v2, s34
	s_mov_b32 s31, 0
	s_mov_b32 s34, 2
	v_cmp_ge_i32_e32 vcc_lo, v8, v50
	s_or_b32 s6, s6, vcc_lo
	s_delay_alu instid0(SALU_CYCLE_1) | instskip(NEXT) | instid1(SALU_CYCLE_1)
	s_and_b32 s6, exec_lo, s6
	s_or_b32 s30, s6, s30
	s_delay_alu instid0(SALU_CYCLE_1)
	s_and_not1_b32 exec_lo, exec_lo, s30
	s_cbranch_execnz .LBB4_1165
; %bb.1324:                             ;   in Loop: Header=BB4_51 Depth=1
	s_or_b32 exec_lo, exec_lo, s30
.LBB4_1325:                             ;   in Loop: Header=BB4_51 Depth=1
	s_delay_alu instid0(SALU_CYCLE_1) | instskip(NEXT) | instid1(SALU_CYCLE_1)
	s_or_b32 exec_lo, exec_lo, s15
	s_mov_b32 s14, exec_lo
	v_cmpx_gt_i32_e32 2, v2
	s_cbranch_execz .LBB4_1404
; %bb.1326:                             ;   in Loop: Header=BB4_51 Depth=1
	v_cmp_eq_u32_e64 s6, 0, v2
	s_mov_b32 s15, 0
.LBB4_1327:                             ;   Parent Loop BB4_51 Depth=1
                                        ; =>  This Loop Header: Depth=2
                                        ;       Child Loop BB4_1333 Depth 3
                                        ;       Child Loop BB4_1360 Depth 3
	;; [unrolled: 1-line block ×3, first 2 shown]
	v_and_b32_e32 v2, 4, v30
	s_mov_b32 s20, -1
	s_mov_b32 s13, exec_lo
	s_delay_alu instid0(VALU_DEP_1)
	v_cmpx_ne_u32_e32 0, v2
	s_cbranch_execz .LBB4_1341
; %bb.1328:                             ;   in Loop: Header=BB4_1327 Depth=2
	v_add_co_u32 v9, vcc_lo, v22, 2
	v_add_co_ci_u32_e32 v10, vcc_lo, 0, v23, vcc_lo
	v_mov_b32_e32 v2, 1
	s_mov_b32 s20, exec_lo
	s_delay_alu instid0(VALU_DEP_2)
	v_cmpx_lt_u64_e64 v[28:29], v[9:10]
	s_cbranch_execz .LBB4_1340
; %bb.1329:                             ;   in Loop: Header=BB4_1327 Depth=2
	v_mov_b32_e32 v2, 0
	s_mov_b32 s28, 0
                                        ; implicit-def: $vcc_hi
	s_branch .LBB4_1333
.LBB4_1330:                             ;   in Loop: Header=BB4_1333 Depth=3
	s_or_b32 exec_lo, exec_lo, s35
	v_mov_b32_e32 v11, 0
	s_or_not1_b32 s34, s34, exec_lo
.LBB4_1331:                             ;   in Loop: Header=BB4_1333 Depth=3
	s_or_b32 exec_lo, exec_lo, s31
	s_delay_alu instid0(VALU_DEP_1) | instskip(SKIP_2) | instid1(SALU_CYCLE_1)
	v_mov_b32_e32 v2, v11
	s_and_not1_b32 vcc_lo, vcc_hi, exec_lo
	s_and_b32 vcc_hi, s34, exec_lo
	s_or_b32 vcc_hi, vcc_lo, vcc_hi
.LBB4_1332:                             ;   in Loop: Header=BB4_1333 Depth=3
	s_or_b32 exec_lo, exec_lo, s30
	s_waitcnt vmcnt(0) lgkmcnt(0)
	v_cmp_ge_u64_e32 vcc_lo, v[28:29], v[9:10]
	s_xor_b32 s30, vcc_hi, -1
	s_delay_alu instid0(SALU_CYCLE_1) | instskip(NEXT) | instid1(SALU_CYCLE_1)
	s_or_b32 vcc_lo, s30, vcc_lo
	s_and_b32 vcc_lo, exec_lo, vcc_lo
	s_delay_alu instid0(SALU_CYCLE_1) | instskip(NEXT) | instid1(SALU_CYCLE_1)
	s_or_b32 s28, vcc_lo, s28
	s_and_not1_b32 exec_lo, exec_lo, s28
	s_cbranch_execz .LBB4_1339
.LBB4_1333:                             ;   Parent Loop BB4_51 Depth=1
                                        ;     Parent Loop BB4_1327 Depth=2
                                        ; =>    This Inner Loop Header: Depth=3
	s_sleep 1
	flat_load_b64 v[28:29], v[20:21] glc
	v_and_b32_e32 v11, 64, v30
	s_and_not1_b32 vcc_hi, vcc_hi, exec_lo
	s_mov_b32 s30, exec_lo
	s_delay_alu instid0(VALU_DEP_1)
	v_cmpx_eq_u32_e32 0, v11
	s_cbranch_execz .LBB4_1332
; %bb.1334:                             ;   in Loop: Header=BB4_1333 Depth=3
	v_add_nc_u32_e32 v11, 1, v2
	s_mov_b32 s34, -1
	s_mov_b32 s31, exec_lo
	v_cmpx_lt_i32_e32 0x270e, v2
	s_cbranch_execz .LBB4_1331
; %bb.1335:                             ;   in Loop: Header=BB4_1333 Depth=3
	s_cbranch_execnz .LBB4_1618
; %bb.1336:                             ;   in Loop: Header=BB4_1333 Depth=3
	ds_load_b64 v[38:39], v0
	s_mov_b32 s35, exec_lo
	s_waitcnt vmcnt(0) lgkmcnt(0)
	s_waitcnt_vscnt null, 0x0
	flat_load_b32 v2, v[38:39] glc
	s_waitcnt vmcnt(0) lgkmcnt(0)
	buffer_gl1_inv
	buffer_gl0_inv
	v_cmpx_ne_u32_e32 0, v2
	s_cbranch_execz .LBB4_1330
; %bb.1337:                             ;   in Loop: Header=BB4_1333 Depth=3
	ds_store_b32 v0, v2
	s_cbranch_execnz .LBB4_1692
; %bb.1338:                             ;   in Loop: Header=BB4_1333 Depth=3
	v_or_b32_e32 v30, 64, v30
	s_xor_b32 s34, exec_lo, -1
	s_branch .LBB4_1330
.LBB4_1339:                             ;   in Loop: Header=BB4_1327 Depth=2
	s_or_b32 exec_lo, exec_lo, s28
	v_and_b32_e32 v2, 4, v30
.LBB4_1340:                             ;   in Loop: Header=BB4_1327 Depth=2
	s_or_b32 exec_lo, exec_lo, s20
	s_delay_alu instid0(VALU_DEP_1)
	v_cmp_eq_u32_e32 vcc_lo, 0, v2
	;;#ASMSTART
	s_wakeup
	;;#ASMEND
	s_or_not1_b32 s20, vcc_lo, exec_lo
.LBB4_1341:                             ;   in Loop: Header=BB4_1327 Depth=2
	s_or_b32 exec_lo, exec_lo, s13
	s_xor_b32 s6, s6, -1
	s_delay_alu instid0(SALU_CYCLE_1) | instskip(NEXT) | instid1(SALU_CYCLE_1)
	s_and_b32 s6, exec_lo, s6
	s_or_b32 s15, s6, s15
	s_xor_b32 s13, s20, -1
	s_delay_alu instid0(SALU_CYCLE_1)
	s_and_saveexec_b32 s6, s13
	s_cbranch_execz .LBB4_1351
; %bb.1342:                             ;   in Loop: Header=BB4_1327 Depth=2
	v_and_b32_e32 v2, 0x100, v30
	s_mov_b32 s13, -1
                                        ; implicit-def: $vgpr9_vgpr10
	s_delay_alu instid0(VALU_DEP_1)
	v_cmp_ne_u32_e32 vcc_lo, 0, v2
	v_and_b32_e32 v2, 7, v22
	s_and_saveexec_b32 s20, vcc_lo
	s_cbranch_execz .LBB4_1346
; %bb.1343:                             ;   in Loop: Header=BB4_1327 Depth=2
	s_delay_alu instid0(VALU_DEP_1) | instskip(SKIP_4) | instid1(VALU_DEP_1)
	v_mad_u64_u32 v[38:39], null, v2, 24, v[6:7]
	flat_load_b32 v9, v[38:39]
	s_waitcnt vmcnt(0) lgkmcnt(0)
	v_cmp_ne_u32_e32 vcc_lo, 1, v9
	v_cmp_eq_u32_e64 s13, 1, v9
                                        ; implicit-def: $vgpr9_vgpr10
	s_and_saveexec_b32 s28, s13
	s_cbranch_execz .LBB4_1345
; %bb.1344:                             ;   in Loop: Header=BB4_1327 Depth=2
	flat_load_b32 v9, v[38:39] offset:4 glc
	s_waitcnt vmcnt(0) lgkmcnt(0)
	v_ashrrev_i32_e32 v10, 31, v9
	s_delay_alu instid0(VALU_DEP_1)
	v_lshrrev_b64 v[9:10], 3, v[9:10]
.LBB4_1345:                             ;   in Loop: Header=BB4_1327 Depth=2
	s_or_b32 exec_lo, exec_lo, s28
	s_delay_alu instid0(SALU_CYCLE_1)
	s_or_not1_b32 s13, vcc_lo, exec_lo
.LBB4_1346:                             ;   in Loop: Header=BB4_1327 Depth=2
	s_or_b32 exec_lo, exec_lo, s20
	s_and_saveexec_b32 s20, s13
; %bb.1347:                             ;   in Loop: Header=BB4_1327 Depth=2
	v_mad_i64_i32 v[9:10], null, v2, v81, 0
; %bb.1348:                             ;   in Loop: Header=BB4_1327 Depth=2
	s_or_b32 exec_lo, exec_lo, s20
	s_delay_alu instid0(VALU_DEP_1) | instskip(SKIP_2) | instid1(VALU_DEP_2)
	v_lshlrev_b64 v[9:10], 3, v[9:10]
	v_and_b32_e32 v2, 0x2000, v30
	s_mov_b32 s13, exec_lo
	v_add_co_u32 v9, vcc_lo, v24, v9
	s_delay_alu instid0(VALU_DEP_3)
	v_add_co_ci_u32_e32 v10, vcc_lo, v25, v10, vcc_lo
	ds_store_b64 v0, v[9:10] offset:720
	v_cmpx_ne_u32_e32 0, v2
	s_cbranch_execz .LBB4_1350
; %bb.1349:                             ;   in Loop: Header=BB4_1327 Depth=2
	ds_load_b64 v[9:10], v0 offset:584
	s_waitcnt lgkmcnt(0)
	v_add_co_u32 v9, vcc_lo, v9, 1
	v_add_co_ci_u32_e32 v10, vcc_lo, 0, v10, vcc_lo
	ds_store_b64 v0, v[9:10] offset:584
.LBB4_1350:                             ;   in Loop: Header=BB4_1327 Depth=2
	s_or_b32 exec_lo, exec_lo, s13
	v_add_co_u32 v22, vcc_lo, v22, 2
	v_add_co_ci_u32_e32 v23, vcc_lo, 0, v23, vcc_lo
.LBB4_1351:                             ;   in Loop: Header=BB4_1327 Depth=2
	s_or_b32 exec_lo, exec_lo, s6
	s_and_saveexec_b32 s6, s3
	s_cbranch_execz .LBB4_1373
; %bb.1352:                             ;   in Loop: Header=BB4_1327 Depth=2
	s_and_saveexec_b32 s13, s4
	s_delay_alu instid0(SALU_CYCLE_1)
	s_xor_b32 s13, exec_lo, s13
	s_cbranch_execz .LBB4_1370
; %bb.1353:                             ;   in Loop: Header=BB4_1327 Depth=2
	s_and_saveexec_b32 s20, s1
	s_cbranch_execz .LBB4_1369
; %bb.1354:                             ;   in Loop: Header=BB4_1327 Depth=2
	s_mov_b32 vcc_hi, exec_lo
	s_mov_b32 s28, exec_lo
	v_mbcnt_lo_u32_b32 v2, vcc_hi, 0
	s_waitcnt lgkmcnt(0)
	s_waitcnt_vscnt null, 0x0
	buffer_gl1_inv
	buffer_gl0_inv
	v_cmpx_eq_u32_e32 0, v2
	s_cbranch_execz .LBB4_1356
; %bb.1355:                             ;   in Loop: Header=BB4_1327 Depth=2
	s_bcnt1_i32_b32 vcc_lo, vcc_hi
	s_delay_alu instid0(SALU_CYCLE_1)
	v_mov_b32_e32 v2, vcc_lo
	ds_add_u64 v0, v[2:3]
	s_cbranch_execnz .LBB4_1726
.LBB4_1356:                             ;   in Loop: Header=BB4_1327 Depth=2
	s_or_b32 exec_lo, exec_lo, s28
	s_cbranch_execnz .LBB4_1700
; %bb.1357:                             ;   in Loop: Header=BB4_1327 Depth=2
	ds_load_b64 v[9:10], v0
	v_add_co_u32 v12, vcc_lo, v12, v83
	v_add_co_ci_u32_e32 v13, vcc_lo, 0, v13, vcc_lo
	s_mov_b32 s28, exec_lo
	s_waitcnt lgkmcnt(0)
	s_delay_alu instid0(VALU_DEP_1)
	v_cmpx_lt_u64_e64 v[9:10], v[12:13]
	s_cbranch_execz .LBB4_1368
; %bb.1358:                             ;   in Loop: Header=BB4_1327 Depth=2
	s_mov_b32 vcc_hi, 0
	s_mov_b32 s34, 0
                                        ; implicit-def: $sgpr30
                                        ; implicit-def: $sgpr31
	s_branch .LBB4_1360
.LBB4_1359:                             ;   in Loop: Header=BB4_1360 Depth=3
	s_or_b32 exec_lo, exec_lo, s36
	s_delay_alu instid0(SALU_CYCLE_1) | instskip(NEXT) | instid1(SALU_CYCLE_1)
	s_and_b32 vcc_lo, exec_lo, vcc_lo
	s_or_b32 vcc_hi, vcc_lo, vcc_hi
	s_and_not1_b32 vcc_lo, s30, exec_lo
	s_and_b32 s30, s31, exec_lo
	s_delay_alu instid0(SALU_CYCLE_1)
	s_or_b32 s30, vcc_lo, s30
	s_and_not1_b32 exec_lo, exec_lo, vcc_hi
	s_cbranch_execz .LBB4_1366
.LBB4_1360:                             ;   Parent Loop BB4_51 Depth=1
                                        ;     Parent Loop BB4_1327 Depth=2
                                        ; =>    This Inner Loop Header: Depth=3
	s_add_i32 s34, s34, 1
                                        ; implicit-def: $sgpr36
	s_delay_alu instid0(SALU_CYCLE_1) | instskip(SKIP_1) | instid1(SALU_CYCLE_1)
	s_cmpk_lg_i32 s34, 0x2710
	s_cselect_b32 s35, -1, 0
	s_and_b32 vcc_lo, exec_lo, s35
	s_cbranch_vccz .LBB4_1364
.LBB4_1361:                             ;   in Loop: Header=BB4_1360 Depth=3
	s_and_not1_b32 s31, s31, exec_lo
	s_and_b32 s36, s36, exec_lo
	s_mov_b32 vcc_lo, -1
	s_or_b32 s31, s31, s36
	s_and_saveexec_b32 s36, s35
	s_cbranch_execz .LBB4_1359
; %bb.1362:                             ;   in Loop: Header=BB4_1360 Depth=3
	s_sleep 1
	s_cbranch_execnz .LBB4_1778
; %bb.1363:                             ;   in Loop: Header=BB4_1360 Depth=3
	ds_load_b64 v[9:10], v0
	s_and_not1_b32 s31, s31, exec_lo
	s_waitcnt lgkmcnt(0)
	v_cmp_ge_u64_e32 vcc_lo, v[9:10], v[12:13]
	s_or_not1_b32 vcc_lo, vcc_lo, exec_lo
	s_branch .LBB4_1359
.LBB4_1364:                             ;   in Loop: Header=BB4_1360 Depth=3
	s_cbranch_execnz .LBB4_1796
; %bb.1365:                             ;   in Loop: Header=BB4_1360 Depth=3
	ds_load_b64 v[9:10], v0
	s_and_not1_b32 s35, s35, exec_lo
	s_mov_b32 s34, 0
	s_mov_b32 s36, -1
	s_waitcnt lgkmcnt(0)
	flat_load_b32 v2, v[9:10] glc
	s_waitcnt vmcnt(0) lgkmcnt(0)
	buffer_gl1_inv
	buffer_gl0_inv
	v_cmp_eq_u32_e32 vcc_lo, 0, v2
	s_and_b32 vcc_lo, vcc_lo, exec_lo
	s_delay_alu instid0(SALU_CYCLE_1)
	s_or_b32 s35, s35, vcc_lo
	s_branch .LBB4_1361
.LBB4_1366:                             ;   in Loop: Header=BB4_1327 Depth=2
	s_or_b32 exec_lo, exec_lo, vcc_hi
	s_and_saveexec_b32 vcc_lo, s30
	s_delay_alu instid0(SALU_CYCLE_1)
	s_xor_b32 vcc_lo, exec_lo, vcc_lo
	s_cbranch_execz .LBB4_1368
; %bb.1367:                             ;   in Loop: Header=BB4_1327 Depth=2
	ds_store_b32 v0, v128
	s_cbranch_execnz .LBB4_1920
.LBB4_1368:                             ;   in Loop: Header=BB4_1327 Depth=2
	s_or_b32 exec_lo, exec_lo, s28
	;;#ASMSTART
	s_wakeup
	;;#ASMEND
.LBB4_1369:                             ;   in Loop: Header=BB4_1327 Depth=2
	s_or_b32 exec_lo, exec_lo, s20
.LBB4_1370:                             ;   in Loop: Header=BB4_1327 Depth=2
	s_and_not1_saveexec_b32 s13, s13
	s_cbranch_execz .LBB4_1372
; %bb.1371:                             ;   in Loop: Header=BB4_1327 Depth=2
	s_waitcnt lgkmcnt(0)
	s_waitcnt_vscnt null, 0x0
	buffer_gl1_inv
	buffer_gl0_inv
	s_barrier
.LBB4_1372:                             ;   in Loop: Header=BB4_1327 Depth=2
	s_or_b32 exec_lo, exec_lo, s13
.LBB4_1373:                             ;   in Loop: Header=BB4_1327 Depth=2
	s_delay_alu instid0(SALU_CYCLE_1) | instskip(SKIP_1) | instid1(VALU_DEP_1)
	s_or_b32 exec_lo, exec_lo, s6
	v_sub_nc_u32_e32 v2, v50, v8
	v_min_i32_e32 v51, v51, v2
	s_and_saveexec_b32 s6, s7
	s_delay_alu instid0(SALU_CYCLE_1)
	s_xor_b32 s6, exec_lo, s6
	s_cbranch_execz .LBB4_1378
; %bb.1374:                             ;   in Loop: Header=BB4_1327 Depth=2
	s_cbranch_execnz .LBB4_1614
; %bb.1375:                             ;   in Loop: Header=BB4_1327 Depth=2
	ds_load_b32 v2, v0
	v_cmp_lt_i32_e32 vcc_lo, 0, v51
	s_waitcnt lgkmcnt(0)
	v_readfirstlane_b32 s13, v2
	v_and_b32_e32 v2, 16, v30
	s_delay_alu instid0(VALU_DEP_2) | instskip(NEXT) | instid1(VALU_DEP_1)
	s_cmp_eq_u32 s13, 0
	v_cmp_ne_u32_e64 s13, 0, v2
	s_cselect_b32 s20, -1, 0
	s_delay_alu instid0(SALU_CYCLE_1)
	s_and_b32 s20, vcc_lo, s20
	s_delay_alu instid0(VALU_DEP_1) | instid1(SALU_CYCLE_1)
	s_and_b32 s20, s13, s20
	s_delay_alu instid0(SALU_CYCLE_1)
	s_and_saveexec_b32 s13, s20
	s_cbranch_execz .LBB4_1377
; %bb.1376:                             ;   in Loop: Header=BB4_1327 Depth=2
	s_waitcnt_vscnt null, 0x0
	buffer_gl1_inv
	buffer_gl0_inv
.LBB4_1377:                             ;   in Loop: Header=BB4_1327 Depth=2
	s_or_b32 exec_lo, exec_lo, s13
.LBB4_1378:                             ;   in Loop: Header=BB4_1327 Depth=2
	s_and_not1_saveexec_b32 s6, s6
	s_cbranch_execz .LBB4_1400
; %bb.1379:                             ;   in Loop: Header=BB4_1327 Depth=2
	s_and_saveexec_b32 s13, s4
	s_delay_alu instid0(SALU_CYCLE_1)
	s_xor_b32 s13, exec_lo, s13
	s_cbranch_execz .LBB4_1397
; %bb.1380:                             ;   in Loop: Header=BB4_1327 Depth=2
	s_and_saveexec_b32 s20, s1
	s_cbranch_execz .LBB4_1396
; %bb.1381:                             ;   in Loop: Header=BB4_1327 Depth=2
	s_mov_b32 vcc_hi, exec_lo
	s_mov_b32 s28, exec_lo
	v_mbcnt_lo_u32_b32 v2, vcc_hi, 0
	;;#ASMSTART
	s_waitcnt lgkmcnt(0) vmcnt(0)
	;;#ASMEND
	s_delay_alu instid0(VALU_DEP_1)
	v_cmpx_eq_u32_e32 0, v2
	s_cbranch_execz .LBB4_1383
; %bb.1382:                             ;   in Loop: Header=BB4_1327 Depth=2
	s_bcnt1_i32_b32 vcc_lo, vcc_hi
	s_delay_alu instid0(SALU_CYCLE_1)
	v_mov_b32_e32 v2, vcc_lo
	ds_add_u64 v0, v[2:3]
	s_cbranch_execnz .LBB4_1752
.LBB4_1383:                             ;   in Loop: Header=BB4_1327 Depth=2
	s_or_b32 exec_lo, exec_lo, s28
	s_cbranch_execnz .LBB4_1724
; %bb.1384:                             ;   in Loop: Header=BB4_1327 Depth=2
	ds_load_b64 v[9:10], v0
	v_add_co_u32 v12, vcc_lo, v12, v83
	v_add_co_ci_u32_e32 v13, vcc_lo, 0, v13, vcc_lo
	s_mov_b32 s28, exec_lo
	s_waitcnt lgkmcnt(0)
	s_delay_alu instid0(VALU_DEP_1)
	v_cmpx_lt_u64_e64 v[9:10], v[12:13]
	s_cbranch_execz .LBB4_1395
; %bb.1385:                             ;   in Loop: Header=BB4_1327 Depth=2
	s_mov_b32 vcc_hi, 0
	s_mov_b32 s34, 0
                                        ; implicit-def: $sgpr30
                                        ; implicit-def: $sgpr31
	s_branch .LBB4_1387
.LBB4_1386:                             ;   in Loop: Header=BB4_1387 Depth=3
	s_or_b32 exec_lo, exec_lo, s36
	s_delay_alu instid0(SALU_CYCLE_1) | instskip(NEXT) | instid1(SALU_CYCLE_1)
	s_and_b32 vcc_lo, exec_lo, vcc_lo
	s_or_b32 vcc_hi, vcc_lo, vcc_hi
	s_and_not1_b32 vcc_lo, s30, exec_lo
	s_and_b32 s30, s31, exec_lo
	s_delay_alu instid0(SALU_CYCLE_1)
	s_or_b32 s30, vcc_lo, s30
	s_and_not1_b32 exec_lo, exec_lo, vcc_hi
	s_cbranch_execz .LBB4_1393
.LBB4_1387:                             ;   Parent Loop BB4_51 Depth=1
                                        ;     Parent Loop BB4_1327 Depth=2
                                        ; =>    This Inner Loop Header: Depth=3
	s_add_i32 s34, s34, 1
                                        ; implicit-def: $sgpr36
	s_delay_alu instid0(SALU_CYCLE_1) | instskip(SKIP_1) | instid1(SALU_CYCLE_1)
	s_cmpk_lg_i32 s34, 0x2710
	s_cselect_b32 s35, -1, 0
	s_and_b32 vcc_lo, exec_lo, s35
	s_cbranch_vccz .LBB4_1391
.LBB4_1388:                             ;   in Loop: Header=BB4_1387 Depth=3
	s_and_not1_b32 s31, s31, exec_lo
	s_and_b32 s36, s36, exec_lo
	s_mov_b32 vcc_lo, -1
	s_or_b32 s31, s31, s36
	s_and_saveexec_b32 s36, s35
	s_cbranch_execz .LBB4_1386
; %bb.1389:                             ;   in Loop: Header=BB4_1387 Depth=3
	s_sleep 1
	s_cbranch_execnz .LBB4_1806
; %bb.1390:                             ;   in Loop: Header=BB4_1387 Depth=3
	ds_load_b64 v[9:10], v0
	s_and_not1_b32 s31, s31, exec_lo
	s_waitcnt lgkmcnt(0)
	v_cmp_ge_u64_e32 vcc_lo, v[9:10], v[12:13]
	s_or_not1_b32 vcc_lo, vcc_lo, exec_lo
	s_branch .LBB4_1386
.LBB4_1391:                             ;   in Loop: Header=BB4_1387 Depth=3
	s_cbranch_execnz .LBB4_1828
; %bb.1392:                             ;   in Loop: Header=BB4_1387 Depth=3
	ds_load_b64 v[9:10], v0
	s_and_not1_b32 s35, s35, exec_lo
	s_mov_b32 s34, 0
	s_mov_b32 s36, -1
	s_waitcnt lgkmcnt(0)
	s_waitcnt_vscnt null, 0x0
	flat_load_b32 v2, v[9:10] glc
	s_waitcnt vmcnt(0) lgkmcnt(0)
	buffer_gl1_inv
	buffer_gl0_inv
	v_cmp_eq_u32_e32 vcc_lo, 0, v2
	s_and_b32 vcc_lo, vcc_lo, exec_lo
	s_delay_alu instid0(SALU_CYCLE_1)
	s_or_b32 s35, s35, vcc_lo
	s_branch .LBB4_1388
.LBB4_1393:                             ;   in Loop: Header=BB4_1327 Depth=2
	s_or_b32 exec_lo, exec_lo, vcc_hi
	s_and_saveexec_b32 vcc_lo, s30
	s_delay_alu instid0(SALU_CYCLE_1)
	s_xor_b32 vcc_lo, exec_lo, vcc_lo
	s_cbranch_execz .LBB4_1395
; %bb.1394:                             ;   in Loop: Header=BB4_1327 Depth=2
	ds_store_b32 v0, v128
	s_cbranch_execnz .LBB4_1932
.LBB4_1395:                             ;   in Loop: Header=BB4_1327 Depth=2
	s_or_b32 exec_lo, exec_lo, s28
	;;#ASMSTART
	s_wakeup
	;;#ASMEND
.LBB4_1396:                             ;   in Loop: Header=BB4_1327 Depth=2
	s_or_b32 exec_lo, exec_lo, s20
.LBB4_1397:                             ;   in Loop: Header=BB4_1327 Depth=2
	s_and_not1_saveexec_b32 s13, s13
	s_cbranch_execz .LBB4_1399
; %bb.1398:                             ;   in Loop: Header=BB4_1327 Depth=2
	;;#ASMSTART
	s_waitcnt lgkmcnt(0) vmcnt(0)
	;;#ASMEND
	s_waitcnt lgkmcnt(0)
	s_waitcnt_vscnt null, 0x0
	s_barrier
.LBB4_1399:                             ;   in Loop: Header=BB4_1327 Depth=2
	s_or_b32 exec_lo, exec_lo, s13
.LBB4_1400:                             ;   in Loop: Header=BB4_1327 Depth=2
	s_delay_alu instid0(SALU_CYCLE_1) | instskip(SKIP_2) | instid1(VALU_DEP_1)
	s_or_b32 exec_lo, exec_lo, s6
	v_and_b32_e32 v2, 32, v30
	s_mov_b32 s6, exec_lo
	v_cmpx_ne_u32_e32 0, v2
	s_cbranch_execz .LBB4_1402
; %bb.1401:                             ;   in Loop: Header=BB4_1327 Depth=2
	v_add_co_u32 v22, vcc_lo, v22, 2
	v_add_co_ci_u32_e32 v23, vcc_lo, 0, v23, vcc_lo
	s_waitcnt lgkmcnt(0)
	s_waitcnt_vscnt null, 0x0
	flat_store_b64 v[20:21], v[22:23]
.LBB4_1402:                             ;   in Loop: Header=BB4_1327 Depth=2
	s_or_b32 exec_lo, exec_lo, s6
	v_add_nc_u32_e32 v8, v51, v8
	s_mov_b32 s6, 0
	s_and_not1_b32 exec_lo, exec_lo, s15
	s_cbranch_execnz .LBB4_1327
; %bb.1403:                             ;   in Loop: Header=BB4_51 Depth=1
	s_or_b32 exec_lo, exec_lo, s15
.LBB4_1404:                             ;   in Loop: Header=BB4_51 Depth=1
	s_delay_alu instid0(SALU_CYCLE_1)
	s_or_b32 exec_lo, exec_lo, s14
	v_add_co_u32 v34, vcc_lo, v34, v32
	v_add_co_ci_u32_e32 v35, vcc_lo, v35, v33, vcc_lo
	v_readlane_b32 s20, v42, 1
	v_readlane_b32 s35, v42, 11
	;; [unrolled: 1-line block ×3, first 2 shown]
	s_delay_alu instid0(VALU_DEP_4)
	v_cmp_ge_i64_e32 vcc_lo, v[34:35], v[4:5]
	v_readlane_b32 s13, v42, 13
	s_mov_b32 s14, s17
	s_mov_b32 s34, s16
	;; [unrolled: 1-line block ×3, first 2 shown]
	v_readlane_b32 s15, v42, 3
	s_or_b32 s20, vcc_lo, s20
	v_readlane_b32 s6, v42, 2
	v_writelane_b32 v42, s20, 1
	s_and_not1_b32 exec_lo, exec_lo, s20
	s_cbranch_execnz .LBB4_51
; %bb.1405:
	s_delay_alu instid0(VALU_DEP_1) | instskip(NEXT) | instid1(VALU_DEP_1)
	v_readlane_b32 s0, v42, 1
	s_or_b32 exec_lo, exec_lo, s0
	v_readlane_b32 s2, v42, 0
.LBB4_1406:
	s_delay_alu instid0(VALU_DEP_1)
	s_or_b32 exec_lo, exec_lo, s2
; %bb.1407:
	v_and_b32_e32 v0, 0x800, v30
	s_mov_b32 s0, exec_lo
	s_delay_alu instid0(VALU_DEP_1)
	v_cmpx_eq_u32_e32 0, v0
	s_cbranch_execz .LBB4_1664
; %bb.1408:
	v_and_b32_e32 v0, 48, v30
	s_mov_b32 s1, exec_lo
	s_delay_alu instid0(VALU_DEP_1)
	v_cmpx_ne_u32_e32 0, v0
	s_cbranch_execz .LBB4_1410
; %bb.1409:
	flat_store_b64 v[18:19], v[22:23] offset:104
.LBB4_1410:
	s_or_b32 exec_lo, exec_lo, s1
	v_and_b32_e32 v0, 0x88, v30
	s_mov_b32 s1, exec_lo
	s_delay_alu instid0(VALU_DEP_1)
	v_cmpx_eq_u32_e32 0x88, v0
	s_cbranch_execz .LBB4_1460
; %bb.1411:
	v_add_nc_u32_e32 v0, 6, v22
	s_mov_b32 s2, 0
                                        ; implicit-def: $sgpr3
	s_delay_alu instid0(VALU_DEP_1) | instskip(NEXT) | instid1(VALU_DEP_1)
	v_and_b32_e32 v0, 7, v0
	v_mad_u64_u32 v[2:3], null, v0, 24, v[6:7]
	v_mov_b32_e32 v0, 0
	s_delay_alu instid0(VALU_DEP_2) | instskip(NEXT) | instid1(VALU_DEP_3)
	v_add_co_u32 v2, vcc_lo, v2, 8
	v_add_co_ci_u32_e32 v3, vcc_lo, 0, v3, vcc_lo
	s_branch .LBB4_1446
.LBB4_1412:
	s_trap 2
	s_sendmsg_rtn_b32 s0, sendmsg(MSG_RTN_GET_DOORBELL)
	s_mov_b32 ttmp2, m0
	s_waitcnt lgkmcnt(0)
	s_and_b32 s0, s0, 0x3ff
	s_delay_alu instid0(SALU_CYCLE_1) | instskip(NEXT) | instid1(SALU_CYCLE_1)
	s_bitset1_b32 s0, 10
	s_mov_b32 m0, s0
	s_sendmsg sendmsg(MSG_INTERRUPT)
	s_mov_b32 m0, ttmp2
.LBB4_1413:                             ; =>This Inner Loop Header: Depth=1
	s_sethalt 5
	s_branch .LBB4_1413
.LBB4_1414:
	v_bfe_u32 v9, v7, 8, 8
	v_not_b32_e32 v8, v8
	s_mov_b32 s1, exec_lo
                                        ; implicit-def: $vgpr32_vgpr33
                                        ; implicit-def: $vgpr14_vgpr15
                                        ; implicit-def: $vgpr4_vgpr5
	s_delay_alu instid0(VALU_DEP_2)
	v_cmpx_ne_u32_e64 v9, v6
	s_xor_b32 s1, exec_lo, s1
	s_cbranch_execz .LBB4_1416
; %bb.1415:
	s_clause 0x1
	flat_load_b128 v[9:12], v[2:3] offset:72
	flat_load_b64 v[4:5], v[2:3] offset:96
	v_add_nc_u32_e32 v6, v6, v8
                                        ; implicit-def: $vgpr8
	s_waitcnt vmcnt(0) lgkmcnt(0)
	v_lshrrev_b64 v[32:33], 15, v[4:5]
	v_dual_mov_b32 v4, v11 :: v_dual_mov_b32 v5, v12
	s_delay_alu instid0(VALU_DEP_3) | instskip(SKIP_2) | instid1(VALU_DEP_3)
	v_ashrrev_i32_e32 v7, 31, v6
	v_mad_u64_u32 v[14:15], null, v11, v6, v[9:10]
	v_mul_lo_u32 v6, v12, v6
                                        ; implicit-def: $vgpr9
	v_mul_lo_u32 v7, v11, v7
	s_delay_alu instid0(VALU_DEP_1)
	v_add3_u32 v15, v6, v15, v7
.LBB4_1416:
	s_and_not1_saveexec_b32 s1, s1
	s_cbranch_execz .LBB4_1418
; %bb.1417:
	s_clause 0x1
	flat_load_b128 v[10:13], v[2:3] offset:72
	flat_load_b128 v[4:7], v[2:3] offset:88
	s_waitcnt vmcnt(0) lgkmcnt(0)
	v_add_nc_u32_e32 v6, v9, v8
	s_delay_alu instid0(VALU_DEP_1) | instskip(NEXT) | instid1(VALU_DEP_1)
	v_ashrrev_i32_e32 v8, 31, v6
	v_mul_lo_u32 v8, v12, v8
	v_mad_u64_u32 v[14:15], null, v12, v6, v[10:11]
	v_mul_lo_u32 v6, v13, v6
	v_lshrrev_b32_e32 v32, 4, v7
	s_delay_alu instid0(VALU_DEP_2)
	v_add3_u32 v15, v6, v15, v8
.LBB4_1418:
	s_or_b32 exec_lo, exec_lo, s1
	s_and_not1_saveexec_b32 s0, s0
	s_cbranch_execz .LBB4_3
.LBB4_1419:
	s_clause 0x1
	flat_load_b64 v[6:7], v[2:3] offset:96
	flat_load_b64 v[4:5], v[2:3] offset:72
	v_mov_b32_e32 v14, 0
	v_mov_b32_e32 v15, 0
	s_waitcnt vmcnt(1) lgkmcnt(1)
	v_lshlrev_b64 v[32:33], 6, v[6:7]
	s_or_b32 exec_lo, exec_lo, s0
	s_cbranch_execz .LBB4_4
.LBB4_1420:
	s_trap 2
	s_sendmsg_rtn_b32 s0, sendmsg(MSG_RTN_GET_DOORBELL)
	s_mov_b32 ttmp2, m0
	s_waitcnt lgkmcnt(0)
	s_and_b32 s0, s0, 0x3ff
	s_delay_alu instid0(SALU_CYCLE_1) | instskip(NEXT) | instid1(SALU_CYCLE_1)
	s_bitset1_b32 s0, 10
	s_mov_b32 m0, s0
	s_sendmsg sendmsg(MSG_INTERRUPT)
	s_mov_b32 m0, ttmp2
.LBB4_1421:                             ; =>This Inner Loop Header: Depth=1
	s_sethalt 5
	s_branch .LBB4_1421
.LBB4_1422:
	s_trap 2
	s_sendmsg_rtn_b32 s0, sendmsg(MSG_RTN_GET_DOORBELL)
	s_mov_b32 ttmp2, m0
	s_waitcnt lgkmcnt(0)
	s_and_b32 s0, s0, 0x3ff
	s_delay_alu instid0(SALU_CYCLE_1) | instskip(NEXT) | instid1(SALU_CYCLE_1)
	s_bitset1_b32 s0, 10
	s_mov_b32 m0, s0
	s_sendmsg sendmsg(MSG_INTERRUPT)
	s_mov_b32 m0, ttmp2
.LBB4_1423:                             ; =>This Inner Loop Header: Depth=1
	s_sethalt 5
	s_branch .LBB4_1423
.LBB4_1424:
	s_trap 2
	s_sendmsg_rtn_b32 s0, sendmsg(MSG_RTN_GET_DOORBELL)
	s_mov_b32 ttmp2, m0
	s_waitcnt lgkmcnt(0)
	s_and_b32 s0, s0, 0x3ff
	s_delay_alu instid0(SALU_CYCLE_1) | instskip(NEXT) | instid1(SALU_CYCLE_1)
	s_bitset1_b32 s0, 10
	s_mov_b32 m0, s0
	s_sendmsg sendmsg(MSG_INTERRUPT)
	s_mov_b32 m0, ttmp2
.LBB4_1425:                             ; =>This Inner Loop Header: Depth=1
	s_sethalt 5
	s_branch .LBB4_1425
.LBB4_1426:
	s_trap 2
	s_sendmsg_rtn_b32 s0, sendmsg(MSG_RTN_GET_DOORBELL)
	s_mov_b32 ttmp2, m0
	s_waitcnt lgkmcnt(0)
	s_and_b32 s0, s0, 0x3ff
	s_delay_alu instid0(SALU_CYCLE_1) | instskip(NEXT) | instid1(SALU_CYCLE_1)
	s_bitset1_b32 s0, 10
	s_mov_b32 m0, s0
	s_sendmsg sendmsg(MSG_INTERRUPT)
	s_mov_b32 m0, ttmp2
.LBB4_1427:                             ; =>This Inner Loop Header: Depth=1
	s_sethalt 5
	s_branch .LBB4_1427
.LBB4_1428:
	s_trap 2
	s_sendmsg_rtn_b32 s0, sendmsg(MSG_RTN_GET_DOORBELL)
	s_mov_b32 ttmp2, m0
	s_waitcnt lgkmcnt(0)
	s_and_b32 s0, s0, 0x3ff
	s_delay_alu instid0(SALU_CYCLE_1) | instskip(NEXT) | instid1(SALU_CYCLE_1)
	s_bitset1_b32 s0, 10
	s_mov_b32 m0, s0
	s_sendmsg sendmsg(MSG_INTERRUPT)
	s_mov_b32 m0, ttmp2
.LBB4_1429:                             ; =>This Inner Loop Header: Depth=1
	s_sethalt 5
	s_branch .LBB4_1429
.LBB4_1430:
	s_trap 2
	s_sendmsg_rtn_b32 s0, sendmsg(MSG_RTN_GET_DOORBELL)
	s_mov_b32 ttmp2, m0
	s_waitcnt lgkmcnt(0)
	s_and_b32 s0, s0, 0x3ff
	s_delay_alu instid0(SALU_CYCLE_1) | instskip(NEXT) | instid1(SALU_CYCLE_1)
	s_bitset1_b32 s0, 10
	s_mov_b32 m0, s0
	s_sendmsg sendmsg(MSG_INTERRUPT)
	s_mov_b32 m0, ttmp2
.LBB4_1431:                             ; =>This Inner Loop Header: Depth=1
	s_sethalt 5
	s_branch .LBB4_1431
.LBB4_1432:
	s_trap 2
	s_sendmsg_rtn_b32 s0, sendmsg(MSG_RTN_GET_DOORBELL)
	s_mov_b32 ttmp2, m0
	s_waitcnt lgkmcnt(0)
	s_and_b32 s0, s0, 0x3ff
	s_delay_alu instid0(SALU_CYCLE_1) | instskip(NEXT) | instid1(SALU_CYCLE_1)
	s_bitset1_b32 s0, 10
	s_mov_b32 m0, s0
	s_sendmsg sendmsg(MSG_INTERRUPT)
	s_mov_b32 m0, ttmp2
.LBB4_1433:                             ; =>This Inner Loop Header: Depth=1
	s_sethalt 5
	s_branch .LBB4_1433
.LBB4_1434:
	s_trap 2
	s_sendmsg_rtn_b32 s0, sendmsg(MSG_RTN_GET_DOORBELL)
	s_mov_b32 ttmp2, m0
	s_waitcnt lgkmcnt(0)
	s_and_b32 s0, s0, 0x3ff
	s_delay_alu instid0(SALU_CYCLE_1) | instskip(NEXT) | instid1(SALU_CYCLE_1)
	s_bitset1_b32 s0, 10
	s_mov_b32 m0, s0
	s_sendmsg sendmsg(MSG_INTERRUPT)
	s_mov_b32 m0, ttmp2
.LBB4_1435:                             ; =>This Inner Loop Header: Depth=1
	s_sethalt 5
	s_branch .LBB4_1435
.LBB4_1436:
	s_trap 2
	s_sendmsg_rtn_b32 s0, sendmsg(MSG_RTN_GET_DOORBELL)
	s_mov_b32 ttmp2, m0
	s_waitcnt lgkmcnt(0)
	s_and_b32 s0, s0, 0x3ff
	s_delay_alu instid0(SALU_CYCLE_1) | instskip(NEXT) | instid1(SALU_CYCLE_1)
	s_bitset1_b32 s0, 10
	s_mov_b32 m0, s0
	s_sendmsg sendmsg(MSG_INTERRUPT)
	s_mov_b32 m0, ttmp2
.LBB4_1437:                             ; =>This Inner Loop Header: Depth=1
	s_sethalt 5
	s_branch .LBB4_1437
.LBB4_1438:
	s_trap 2
	s_sendmsg_rtn_b32 s0, sendmsg(MSG_RTN_GET_DOORBELL)
	s_mov_b32 ttmp2, m0
	s_waitcnt lgkmcnt(0)
	s_and_b32 s0, s0, 0x3ff
	s_delay_alu instid0(SALU_CYCLE_1) | instskip(NEXT) | instid1(SALU_CYCLE_1)
	s_bitset1_b32 s0, 10
	s_mov_b32 m0, s0
	s_sendmsg sendmsg(MSG_INTERRUPT)
	s_mov_b32 m0, ttmp2
.LBB4_1439:                             ; =>This Inner Loop Header: Depth=1
	s_sethalt 5
	s_branch .LBB4_1439
.LBB4_1440:
	s_trap 2
	s_sendmsg_rtn_b32 s0, sendmsg(MSG_RTN_GET_DOORBELL)
	s_mov_b32 ttmp2, m0
	s_waitcnt lgkmcnt(0)
	s_and_b32 s0, s0, 0x3ff
	s_delay_alu instid0(SALU_CYCLE_1) | instskip(NEXT) | instid1(SALU_CYCLE_1)
	s_bitset1_b32 s0, 10
	s_mov_b32 m0, s0
	s_sendmsg sendmsg(MSG_INTERRUPT)
	s_mov_b32 m0, ttmp2
.LBB4_1441:                             ; =>This Inner Loop Header: Depth=1
	s_sethalt 5
	s_branch .LBB4_1441
.LBB4_1442:                             ;   in Loop: Header=BB4_1446 Depth=1
	s_or_b32 exec_lo, exec_lo, s10
	v_mov_b32_e32 v4, 0
	s_or_not1_b32 s7, s7, exec_lo
.LBB4_1443:                             ;   in Loop: Header=BB4_1446 Depth=1
	s_or_b32 exec_lo, exec_lo, s6
	s_delay_alu instid0(VALU_DEP_1)
	v_mov_b32_e32 v0, v4
	s_and_b32 s6, s7, exec_lo
.LBB4_1444:                             ;   in Loop: Header=BB4_1446 Depth=1
	s_or_b32 exec_lo, exec_lo, s5
	s_xor_b32 s5, s6, -1
	s_and_not1_b32 s3, s3, exec_lo
	s_and_b32 s5, s5, exec_lo
	s_delay_alu instid0(SALU_CYCLE_1)
	s_or_b32 s3, s3, s5
.LBB4_1445:                             ;   in Loop: Header=BB4_1446 Depth=1
	s_or_b32 exec_lo, exec_lo, s4
	s_delay_alu instid0(SALU_CYCLE_1) | instskip(NEXT) | instid1(SALU_CYCLE_1)
	s_and_b32 s4, exec_lo, s3
	s_or_b32 s2, s4, s2
	s_delay_alu instid0(SALU_CYCLE_1)
	s_and_not1_b32 exec_lo, exec_lo, s2
	s_cbranch_execz .LBB4_1459
.LBB4_1446:                             ; =>This Inner Loop Header: Depth=1
	flat_load_b64 v[4:5], v[2:3] glc dlc
	s_waitcnt vmcnt(0)
	s_or_b32 s3, s3, exec_lo
	s_mov_b32 s4, exec_lo
	s_waitcnt lgkmcnt(0)
	v_cmpx_ne_u64_e32 -1, v[4:5]
	s_cbranch_execz .LBB4_1445
; %bb.1447:                             ;   in Loop: Header=BB4_1446 Depth=1
	v_and_b32_e32 v4, 64, v30
	s_mov_b32 s6, 0
	s_mov_b32 s5, exec_lo
	s_delay_alu instid0(VALU_DEP_1)
	v_cmpx_eq_u32_e32 0, v4
	s_cbranch_execz .LBB4_1444
; %bb.1448:                             ;   in Loop: Header=BB4_1446 Depth=1
	v_add_nc_u32_e32 v4, 1, v0
	s_mov_b32 s7, -1
	s_mov_b32 s6, exec_lo
	v_cmpx_lt_i32_e32 0x270e, v0
	s_cbranch_execz .LBB4_1443
; %bb.1449:                             ;   in Loop: Header=BB4_1446 Depth=1
	s_cbranch_execnz .LBB4_1453
; %bb.1450:                             ;   in Loop: Header=BB4_1446 Depth=1
	ds_load_b64 v[4:5], v0
	s_mov_b32 s10, exec_lo
	s_waitcnt lgkmcnt(0)
	s_waitcnt_vscnt null, 0x0
	flat_load_b32 v0, v[4:5] glc
	s_waitcnt vmcnt(0) lgkmcnt(0)
	buffer_gl1_inv
	buffer_gl0_inv
	v_cmpx_ne_u32_e32 0, v0
	s_cbranch_execz .LBB4_1442
; %bb.1451:                             ;   in Loop: Header=BB4_1446 Depth=1
	ds_store_b32 v0, v0
	s_cbranch_execnz .LBB4_1477
; %bb.1452:                             ;   in Loop: Header=BB4_1446 Depth=1
	v_or_b32_e32 v30, 64, v30
	s_xor_b32 s7, exec_lo, -1
	s_branch .LBB4_1442
.LBB4_1453:
	s_trap 2
	s_sendmsg_rtn_b32 s0, sendmsg(MSG_RTN_GET_DOORBELL)
	s_mov_b32 ttmp2, m0
	s_waitcnt lgkmcnt(0)
	s_and_b32 s0, s0, 0x3ff
	s_delay_alu instid0(SALU_CYCLE_1) | instskip(NEXT) | instid1(SALU_CYCLE_1)
	s_bitset1_b32 s0, 10
	s_mov_b32 m0, s0
	s_sendmsg sendmsg(MSG_INTERRUPT)
	s_mov_b32 m0, ttmp2
.LBB4_1454:                             ; =>This Inner Loop Header: Depth=1
	s_sethalt 5
	s_branch .LBB4_1454
.LBB4_1455:
	s_trap 2
	s_sendmsg_rtn_b32 s0, sendmsg(MSG_RTN_GET_DOORBELL)
	s_mov_b32 ttmp2, m0
	s_waitcnt lgkmcnt(0)
	s_and_b32 s0, s0, 0x3ff
	s_delay_alu instid0(SALU_CYCLE_1) | instskip(NEXT) | instid1(SALU_CYCLE_1)
	s_bitset1_b32 s0, 10
	s_mov_b32 m0, s0
	s_sendmsg sendmsg(MSG_INTERRUPT)
	s_mov_b32 m0, ttmp2
.LBB4_1456:                             ; =>This Inner Loop Header: Depth=1
	s_sethalt 5
	s_branch .LBB4_1456
.LBB4_1457:
	s_trap 2
	s_sendmsg_rtn_b32 s0, sendmsg(MSG_RTN_GET_DOORBELL)
	s_mov_b32 ttmp2, m0
	s_waitcnt lgkmcnt(0)
	s_and_b32 s0, s0, 0x3ff
	s_delay_alu instid0(SALU_CYCLE_1) | instskip(NEXT) | instid1(SALU_CYCLE_1)
	s_bitset1_b32 s0, 10
	s_mov_b32 m0, s0
	s_sendmsg sendmsg(MSG_INTERRUPT)
	s_mov_b32 m0, ttmp2
.LBB4_1458:                             ; =>This Inner Loop Header: Depth=1
	s_sethalt 5
	s_branch .LBB4_1458
.LBB4_1459:
	s_or_b32 exec_lo, exec_lo, s2
.LBB4_1460:
	s_delay_alu instid0(SALU_CYCLE_1) | instskip(SKIP_2) | instid1(VALU_DEP_1)
	s_or_b32 exec_lo, exec_lo, s1
	v_and_b32_e32 v0, 0x2000, v30
	s_mov_b32 s1, exec_lo
	v_cmpx_ne_u32_e32 0, v0
	s_cbranch_execz .LBB4_1463
; %bb.1461:
	s_cbranch_execnz .LBB4_1471
; %bb.1462:
	ds_load_b64 v[2:3], v0
	s_waitcnt lgkmcnt(0)
	flat_store_b64 v[16:17], v[2:3] offset:16
.LBB4_1463:
	s_or_b32 exec_lo, exec_lo, s1
	v_cmp_ne_u32_e32 vcc_lo, 32, v1
	s_and_b32 exec_lo, exec_lo, vcc_lo
	s_cbranch_execz .LBB4_1664
; %bb.1464:
	s_mov_b32 s1, exec_lo
	v_cmpx_ne_u32_e64 v80, v1
	s_xor_b32 s1, exec_lo, s1
	s_cbranch_execz .LBB4_1662
; %bb.1465:
	v_and_b32_e32 v0, 31, v31
	s_mov_b32 s2, exec_lo
	s_delay_alu instid0(VALU_DEP_1)
	v_cmpx_eq_u32_e32 0, v0
	s_cbranch_execz .LBB4_1661
; %bb.1466:
	s_mov_b32 s4, exec_lo
	s_mov_b32 s3, exec_lo
	v_mbcnt_lo_u32_b32 v0, s4, 0
	s_waitcnt lgkmcnt(0)
	s_waitcnt_vscnt null, 0x0
	buffer_gl1_inv
	buffer_gl0_inv
	v_cmpx_eq_u32_e32 0, v0
	s_cbranch_execz .LBB4_1468
; %bb.1467:
	s_bcnt1_i32_b32 s4, s4
	s_delay_alu instid0(SALU_CYCLE_1)
	v_dual_mov_b32 v3, 0 :: v_dual_mov_b32 v2, s4
	ds_add_u64 v0, v[2:3]
	s_cbranch_execnz .LBB4_1506
.LBB4_1468:
	s_or_b32 exec_lo, exec_lo, s3
	s_cbranch_execnz .LBB4_1485
; %bb.1469:
	v_ashrrev_i32_e32 v0, 31, v1
	s_mov_b32 s3, exec_lo
	s_delay_alu instid0(VALU_DEP_1) | instskip(NEXT) | instid1(VALU_DEP_1)
	v_lshrrev_b32_e32 v0, 27, v0
	v_add_nc_u32_e32 v0, v1, v0
	ds_load_b64 v[2:3], v0
	v_ashrrev_i32_e32 v0, 5, v0
	s_delay_alu instid0(VALU_DEP_1) | instskip(SKIP_1) | instid1(VALU_DEP_2)
	v_ashrrev_i32_e32 v1, 31, v0
	v_add_co_u32 v0, vcc_lo, v12, v0
	v_add_co_ci_u32_e32 v1, vcc_lo, v13, v1, vcc_lo
	s_waitcnt lgkmcnt(0)
	s_delay_alu instid0(VALU_DEP_1)
	v_cmpx_lt_u64_e64 v[2:3], v[0:1]
	s_cbranch_execz .LBB4_1660
; %bb.1470:
	s_mov_b32 s4, 0
	s_mov_b32 s7, 0
                                        ; implicit-def: $sgpr5
                                        ; implicit-def: $sgpr6
	s_branch .LBB4_1492
.LBB4_1471:
	s_trap 2
	s_sendmsg_rtn_b32 s0, sendmsg(MSG_RTN_GET_DOORBELL)
	s_mov_b32 ttmp2, m0
	s_waitcnt lgkmcnt(0)
	s_and_b32 s0, s0, 0x3ff
	s_delay_alu instid0(SALU_CYCLE_1) | instskip(NEXT) | instid1(SALU_CYCLE_1)
	s_bitset1_b32 s0, 10
	s_mov_b32 m0, s0
	s_sendmsg sendmsg(MSG_INTERRUPT)
	s_mov_b32 m0, ttmp2
.LBB4_1472:                             ; =>This Inner Loop Header: Depth=1
	s_sethalt 5
	s_branch .LBB4_1472
.LBB4_1473:
	s_trap 2
	s_sendmsg_rtn_b32 s0, sendmsg(MSG_RTN_GET_DOORBELL)
	s_mov_b32 ttmp2, m0
	s_waitcnt lgkmcnt(0)
	s_and_b32 s0, s0, 0x3ff
	s_delay_alu instid0(SALU_CYCLE_1) | instskip(NEXT) | instid1(SALU_CYCLE_1)
	s_bitset1_b32 s0, 10
	s_mov_b32 m0, s0
	s_sendmsg sendmsg(MSG_INTERRUPT)
	s_mov_b32 m0, ttmp2
.LBB4_1474:                             ; =>This Inner Loop Header: Depth=1
	s_sethalt 5
	s_branch .LBB4_1474
.LBB4_1475:
	s_trap 2
	s_sendmsg_rtn_b32 s0, sendmsg(MSG_RTN_GET_DOORBELL)
	s_mov_b32 ttmp2, m0
	s_waitcnt lgkmcnt(0)
	s_and_b32 s0, s0, 0x3ff
	s_delay_alu instid0(SALU_CYCLE_1) | instskip(NEXT) | instid1(SALU_CYCLE_1)
	s_bitset1_b32 s0, 10
	s_mov_b32 m0, s0
	s_sendmsg sendmsg(MSG_INTERRUPT)
	s_mov_b32 m0, ttmp2
.LBB4_1476:                             ; =>This Inner Loop Header: Depth=1
	s_sethalt 5
	s_branch .LBB4_1476
.LBB4_1477:
	s_trap 2
	s_sendmsg_rtn_b32 s0, sendmsg(MSG_RTN_GET_DOORBELL)
	s_mov_b32 ttmp2, m0
	s_waitcnt lgkmcnt(0)
	s_and_b32 s0, s0, 0x3ff
	s_delay_alu instid0(SALU_CYCLE_1) | instskip(NEXT) | instid1(SALU_CYCLE_1)
	s_bitset1_b32 s0, 10
	s_mov_b32 m0, s0
	s_sendmsg sendmsg(MSG_INTERRUPT)
	s_mov_b32 m0, ttmp2
.LBB4_1478:                             ; =>This Inner Loop Header: Depth=1
	s_sethalt 5
	s_branch .LBB4_1478
.LBB4_1479:
	s_trap 2
	s_sendmsg_rtn_b32 s0, sendmsg(MSG_RTN_GET_DOORBELL)
	s_mov_b32 ttmp2, m0
	s_waitcnt lgkmcnt(0)
	s_and_b32 s0, s0, 0x3ff
	s_delay_alu instid0(SALU_CYCLE_1) | instskip(NEXT) | instid1(SALU_CYCLE_1)
	s_bitset1_b32 s0, 10
	s_mov_b32 m0, s0
	s_sendmsg sendmsg(MSG_INTERRUPT)
	s_mov_b32 m0, ttmp2
.LBB4_1480:                             ; =>This Inner Loop Header: Depth=1
	s_sethalt 5
	s_branch .LBB4_1480
.LBB4_1481:
	s_trap 2
	s_sendmsg_rtn_b32 s0, sendmsg(MSG_RTN_GET_DOORBELL)
	s_mov_b32 ttmp2, m0
	s_waitcnt lgkmcnt(0)
	s_and_b32 s0, s0, 0x3ff
	s_delay_alu instid0(SALU_CYCLE_1) | instskip(NEXT) | instid1(SALU_CYCLE_1)
	s_bitset1_b32 s0, 10
	s_mov_b32 m0, s0
	s_sendmsg sendmsg(MSG_INTERRUPT)
	s_mov_b32 m0, ttmp2
.LBB4_1482:                             ; =>This Inner Loop Header: Depth=1
	s_sethalt 5
	s_branch .LBB4_1482
.LBB4_1483:
	s_trap 2
	s_sendmsg_rtn_b32 s0, sendmsg(MSG_RTN_GET_DOORBELL)
	s_mov_b32 ttmp2, m0
	s_waitcnt lgkmcnt(0)
	s_and_b32 s0, s0, 0x3ff
	s_delay_alu instid0(SALU_CYCLE_1) | instskip(NEXT) | instid1(SALU_CYCLE_1)
	s_bitset1_b32 s0, 10
	s_mov_b32 m0, s0
	s_sendmsg sendmsg(MSG_INTERRUPT)
	s_mov_b32 m0, ttmp2
.LBB4_1484:                             ; =>This Inner Loop Header: Depth=1
	s_sethalt 5
	s_branch .LBB4_1484
.LBB4_1485:
	s_trap 2
	s_sendmsg_rtn_b32 s0, sendmsg(MSG_RTN_GET_DOORBELL)
	s_mov_b32 ttmp2, m0
	s_waitcnt lgkmcnt(0)
	s_and_b32 s0, s0, 0x3ff
	s_delay_alu instid0(SALU_CYCLE_1) | instskip(NEXT) | instid1(SALU_CYCLE_1)
	s_bitset1_b32 s0, 10
	s_mov_b32 m0, s0
	s_sendmsg sendmsg(MSG_INTERRUPT)
	s_mov_b32 m0, ttmp2
.LBB4_1486:                             ; =>This Inner Loop Header: Depth=1
	s_sethalt 5
	s_branch .LBB4_1486
.LBB4_1487:
	s_trap 2
	s_sendmsg_rtn_b32 s0, sendmsg(MSG_RTN_GET_DOORBELL)
	s_mov_b32 ttmp2, m0
	s_waitcnt lgkmcnt(0)
	s_and_b32 s0, s0, 0x3ff
	s_delay_alu instid0(SALU_CYCLE_1) | instskip(NEXT) | instid1(SALU_CYCLE_1)
	s_bitset1_b32 s0, 10
	s_mov_b32 m0, s0
	s_sendmsg sendmsg(MSG_INTERRUPT)
	s_mov_b32 m0, ttmp2
.LBB4_1488:                             ; =>This Inner Loop Header: Depth=1
	s_sethalt 5
	s_branch .LBB4_1488
.LBB4_1489:
	s_trap 2
	s_sendmsg_rtn_b32 s0, sendmsg(MSG_RTN_GET_DOORBELL)
	s_mov_b32 ttmp2, m0
	s_waitcnt lgkmcnt(0)
	s_and_b32 s0, s0, 0x3ff
	s_delay_alu instid0(SALU_CYCLE_1) | instskip(NEXT) | instid1(SALU_CYCLE_1)
	s_bitset1_b32 s0, 10
	s_mov_b32 m0, s0
	s_sendmsg sendmsg(MSG_INTERRUPT)
	s_mov_b32 m0, ttmp2
.LBB4_1490:                             ; =>This Inner Loop Header: Depth=1
	s_sethalt 5
	s_branch .LBB4_1490
.LBB4_1491:                             ;   in Loop: Header=BB4_1492 Depth=1
	s_or_b32 exec_lo, exec_lo, s12
	s_delay_alu instid0(SALU_CYCLE_1) | instskip(NEXT) | instid1(SALU_CYCLE_1)
	s_and_b32 s10, exec_lo, s11
	s_or_b32 s4, s10, s4
	s_and_not1_b32 s5, s5, exec_lo
	s_and_b32 s10, s6, exec_lo
	s_delay_alu instid0(SALU_CYCLE_1)
	s_or_b32 s5, s5, s10
	s_and_not1_b32 exec_lo, exec_lo, s4
	s_cbranch_execz .LBB4_1658
.LBB4_1492:                             ; =>This Inner Loop Header: Depth=1
	s_add_i32 s7, s7, 1
                                        ; implicit-def: $sgpr11
	s_delay_alu instid0(SALU_CYCLE_1) | instskip(SKIP_1) | instid1(SALU_CYCLE_1)
	s_cmpk_lg_i32 s7, 0x2710
	s_cselect_b32 s10, -1, 0
	s_and_b32 vcc_lo, exec_lo, s10
	s_cbranch_vccz .LBB4_1496
.LBB4_1493:                             ;   in Loop: Header=BB4_1492 Depth=1
	s_and_not1_b32 s6, s6, exec_lo
	s_and_b32 s12, s11, exec_lo
	s_mov_b32 s11, -1
	s_or_b32 s6, s6, s12
	s_and_saveexec_b32 s12, s10
	s_cbranch_execz .LBB4_1491
; %bb.1494:                             ;   in Loop: Header=BB4_1492 Depth=1
	s_sleep 1
	s_cbranch_execnz .LBB4_1544
; %bb.1495:                             ;   in Loop: Header=BB4_1492 Depth=1
	ds_load_b64 v[2:3], v0
	s_and_not1_b32 s6, s6, exec_lo
	s_waitcnt lgkmcnt(0)
	v_cmp_ge_u64_e32 vcc_lo, v[2:3], v[0:1]
	s_or_not1_b32 s11, vcc_lo, exec_lo
	s_branch .LBB4_1491
.LBB4_1496:                             ;   in Loop: Header=BB4_1492 Depth=1
	s_cbranch_execnz .LBB4_1546
; %bb.1497:                             ;   in Loop: Header=BB4_1492 Depth=1
	ds_load_b64 v[2:3], v0
	s_and_not1_b32 s10, s10, exec_lo
	s_mov_b32 s7, 0
	s_mov_b32 s11, -1
	s_waitcnt lgkmcnt(0)
	flat_load_b32 v2, v[2:3] glc
	s_waitcnt vmcnt(0) lgkmcnt(0)
	buffer_gl1_inv
	buffer_gl0_inv
	v_cmp_eq_u32_e32 vcc_lo, 0, v2
	s_and_b32 s12, vcc_lo, exec_lo
	s_delay_alu instid0(SALU_CYCLE_1)
	s_or_b32 s10, s10, s12
	s_branch .LBB4_1493
.LBB4_1498:
	s_trap 2
	s_sendmsg_rtn_b32 s0, sendmsg(MSG_RTN_GET_DOORBELL)
	s_mov_b32 ttmp2, m0
	s_waitcnt lgkmcnt(0)
	s_and_b32 s0, s0, 0x3ff
	s_delay_alu instid0(SALU_CYCLE_1) | instskip(NEXT) | instid1(SALU_CYCLE_1)
	s_bitset1_b32 s0, 10
	s_mov_b32 m0, s0
	s_sendmsg sendmsg(MSG_INTERRUPT)
	s_mov_b32 m0, ttmp2
.LBB4_1499:                             ; =>This Inner Loop Header: Depth=1
	s_sethalt 5
	s_branch .LBB4_1499
.LBB4_1500:
	s_trap 2
	s_sendmsg_rtn_b32 s0, sendmsg(MSG_RTN_GET_DOORBELL)
	s_mov_b32 ttmp2, m0
	s_waitcnt lgkmcnt(0)
	s_and_b32 s0, s0, 0x3ff
	s_delay_alu instid0(SALU_CYCLE_1) | instskip(NEXT) | instid1(SALU_CYCLE_1)
	s_bitset1_b32 s0, 10
	s_mov_b32 m0, s0
	s_sendmsg sendmsg(MSG_INTERRUPT)
	s_mov_b32 m0, ttmp2
.LBB4_1501:                             ; =>This Inner Loop Header: Depth=1
	s_sethalt 5
	s_branch .LBB4_1501
.LBB4_1502:
	s_trap 2
	s_sendmsg_rtn_b32 s0, sendmsg(MSG_RTN_GET_DOORBELL)
	s_mov_b32 ttmp2, m0
	s_waitcnt lgkmcnt(0)
	s_and_b32 s0, s0, 0x3ff
	s_delay_alu instid0(SALU_CYCLE_1) | instskip(NEXT) | instid1(SALU_CYCLE_1)
	s_bitset1_b32 s0, 10
	s_mov_b32 m0, s0
	s_sendmsg sendmsg(MSG_INTERRUPT)
	s_mov_b32 m0, ttmp2
.LBB4_1503:                             ; =>This Inner Loop Header: Depth=1
	s_sethalt 5
	s_branch .LBB4_1503
.LBB4_1504:
	s_trap 2
	s_sendmsg_rtn_b32 s0, sendmsg(MSG_RTN_GET_DOORBELL)
	s_mov_b32 ttmp2, m0
	s_waitcnt lgkmcnt(0)
	s_and_b32 s0, s0, 0x3ff
	s_delay_alu instid0(SALU_CYCLE_1) | instskip(NEXT) | instid1(SALU_CYCLE_1)
	s_bitset1_b32 s0, 10
	s_mov_b32 m0, s0
	s_sendmsg sendmsg(MSG_INTERRUPT)
	s_mov_b32 m0, ttmp2
.LBB4_1505:                             ; =>This Inner Loop Header: Depth=1
	s_sethalt 5
	s_branch .LBB4_1505
.LBB4_1506:
	s_trap 2
	s_sendmsg_rtn_b32 s0, sendmsg(MSG_RTN_GET_DOORBELL)
	s_mov_b32 ttmp2, m0
	s_waitcnt lgkmcnt(0)
	s_and_b32 s0, s0, 0x3ff
	s_delay_alu instid0(SALU_CYCLE_1) | instskip(NEXT) | instid1(SALU_CYCLE_1)
	s_bitset1_b32 s0, 10
	s_mov_b32 m0, s0
	s_sendmsg sendmsg(MSG_INTERRUPT)
	s_mov_b32 m0, ttmp2
.LBB4_1507:                             ; =>This Inner Loop Header: Depth=1
	s_sethalt 5
	s_branch .LBB4_1507
.LBB4_1508:
	s_trap 2
	s_sendmsg_rtn_b32 s0, sendmsg(MSG_RTN_GET_DOORBELL)
	s_mov_b32 ttmp2, m0
	s_waitcnt lgkmcnt(0)
	s_and_b32 s0, s0, 0x3ff
	s_delay_alu instid0(SALU_CYCLE_1) | instskip(NEXT) | instid1(SALU_CYCLE_1)
	s_bitset1_b32 s0, 10
	s_mov_b32 m0, s0
	s_sendmsg sendmsg(MSG_INTERRUPT)
	s_mov_b32 m0, ttmp2
.LBB4_1509:                             ; =>This Inner Loop Header: Depth=1
	s_sethalt 5
	s_branch .LBB4_1509
.LBB4_1510:
	s_trap 2
	s_sendmsg_rtn_b32 s0, sendmsg(MSG_RTN_GET_DOORBELL)
	s_mov_b32 ttmp2, m0
	s_waitcnt lgkmcnt(0)
	s_and_b32 s0, s0, 0x3ff
	s_delay_alu instid0(SALU_CYCLE_1) | instskip(NEXT) | instid1(SALU_CYCLE_1)
	s_bitset1_b32 s0, 10
	s_mov_b32 m0, s0
	s_sendmsg sendmsg(MSG_INTERRUPT)
	s_mov_b32 m0, ttmp2
.LBB4_1511:                             ; =>This Inner Loop Header: Depth=1
	s_sethalt 5
	s_branch .LBB4_1511
.LBB4_1512:
	s_trap 2
	s_sendmsg_rtn_b32 s0, sendmsg(MSG_RTN_GET_DOORBELL)
	s_mov_b32 ttmp2, m0
	s_waitcnt lgkmcnt(0)
	s_and_b32 s0, s0, 0x3ff
	s_delay_alu instid0(SALU_CYCLE_1) | instskip(NEXT) | instid1(SALU_CYCLE_1)
	s_bitset1_b32 s0, 10
	s_mov_b32 m0, s0
	s_sendmsg sendmsg(MSG_INTERRUPT)
	s_mov_b32 m0, ttmp2
.LBB4_1513:                             ; =>This Inner Loop Header: Depth=1
	s_sethalt 5
	s_branch .LBB4_1513
.LBB4_1514:
	s_trap 2
	s_sendmsg_rtn_b32 s0, sendmsg(MSG_RTN_GET_DOORBELL)
	s_mov_b32 ttmp2, m0
	s_waitcnt lgkmcnt(0)
	s_and_b32 s0, s0, 0x3ff
	s_delay_alu instid0(SALU_CYCLE_1) | instskip(NEXT) | instid1(SALU_CYCLE_1)
	s_bitset1_b32 s0, 10
	s_mov_b32 m0, s0
	s_sendmsg sendmsg(MSG_INTERRUPT)
	s_mov_b32 m0, ttmp2
.LBB4_1515:                             ; =>This Inner Loop Header: Depth=1
	s_sethalt 5
	s_branch .LBB4_1515
.LBB4_1516:
	s_trap 2
	s_sendmsg_rtn_b32 s0, sendmsg(MSG_RTN_GET_DOORBELL)
	s_mov_b32 ttmp2, m0
	s_waitcnt lgkmcnt(0)
	s_and_b32 s0, s0, 0x3ff
	s_delay_alu instid0(SALU_CYCLE_1) | instskip(NEXT) | instid1(SALU_CYCLE_1)
	s_bitset1_b32 s0, 10
	s_mov_b32 m0, s0
	s_sendmsg sendmsg(MSG_INTERRUPT)
	s_mov_b32 m0, ttmp2
.LBB4_1517:                             ; =>This Inner Loop Header: Depth=1
	s_sethalt 5
	s_branch .LBB4_1517
.LBB4_1518:
	s_trap 2
	s_sendmsg_rtn_b32 s0, sendmsg(MSG_RTN_GET_DOORBELL)
	s_mov_b32 ttmp2, m0
	s_waitcnt lgkmcnt(0)
	s_and_b32 s0, s0, 0x3ff
	s_delay_alu instid0(SALU_CYCLE_1) | instskip(NEXT) | instid1(SALU_CYCLE_1)
	s_bitset1_b32 s0, 10
	s_mov_b32 m0, s0
	s_sendmsg sendmsg(MSG_INTERRUPT)
	s_mov_b32 m0, ttmp2
.LBB4_1519:                             ; =>This Inner Loop Header: Depth=1
	s_sethalt 5
	s_branch .LBB4_1519
.LBB4_1520:
	s_trap 2
	s_sendmsg_rtn_b32 s0, sendmsg(MSG_RTN_GET_DOORBELL)
	s_mov_b32 ttmp2, m0
	s_waitcnt lgkmcnt(0)
	s_and_b32 s0, s0, 0x3ff
	s_delay_alu instid0(SALU_CYCLE_1) | instskip(NEXT) | instid1(SALU_CYCLE_1)
	s_bitset1_b32 s0, 10
	s_mov_b32 m0, s0
	s_sendmsg sendmsg(MSG_INTERRUPT)
	s_mov_b32 m0, ttmp2
.LBB4_1521:                             ; =>This Inner Loop Header: Depth=1
	s_sethalt 5
	s_branch .LBB4_1521
.LBB4_1522:
	s_trap 2
	s_sendmsg_rtn_b32 s0, sendmsg(MSG_RTN_GET_DOORBELL)
	s_mov_b32 ttmp2, m0
	s_waitcnt lgkmcnt(0)
	s_and_b32 s0, s0, 0x3ff
	s_delay_alu instid0(SALU_CYCLE_1) | instskip(NEXT) | instid1(SALU_CYCLE_1)
	s_bitset1_b32 s0, 10
	s_mov_b32 m0, s0
	s_sendmsg sendmsg(MSG_INTERRUPT)
	s_mov_b32 m0, ttmp2
.LBB4_1523:                             ; =>This Inner Loop Header: Depth=1
	s_sethalt 5
	s_branch .LBB4_1523
.LBB4_1524:
	s_trap 2
	s_sendmsg_rtn_b32 s0, sendmsg(MSG_RTN_GET_DOORBELL)
	s_mov_b32 ttmp2, m0
	s_waitcnt lgkmcnt(0)
	s_and_b32 s0, s0, 0x3ff
	s_delay_alu instid0(SALU_CYCLE_1) | instskip(NEXT) | instid1(SALU_CYCLE_1)
	s_bitset1_b32 s0, 10
	s_mov_b32 m0, s0
	s_sendmsg sendmsg(MSG_INTERRUPT)
	s_mov_b32 m0, ttmp2
.LBB4_1525:                             ; =>This Inner Loop Header: Depth=1
	s_sethalt 5
	s_branch .LBB4_1525
.LBB4_1526:
	s_trap 2
	s_sendmsg_rtn_b32 s0, sendmsg(MSG_RTN_GET_DOORBELL)
	s_mov_b32 ttmp2, m0
	s_waitcnt lgkmcnt(0)
	s_and_b32 s0, s0, 0x3ff
	s_delay_alu instid0(SALU_CYCLE_1) | instskip(NEXT) | instid1(SALU_CYCLE_1)
	s_bitset1_b32 s0, 10
	s_mov_b32 m0, s0
	s_sendmsg sendmsg(MSG_INTERRUPT)
	s_mov_b32 m0, ttmp2
.LBB4_1527:                             ; =>This Inner Loop Header: Depth=1
	s_sethalt 5
	s_branch .LBB4_1527
.LBB4_1528:
	s_trap 2
	s_sendmsg_rtn_b32 s0, sendmsg(MSG_RTN_GET_DOORBELL)
	s_mov_b32 ttmp2, m0
	s_waitcnt lgkmcnt(0)
	s_and_b32 s0, s0, 0x3ff
	s_delay_alu instid0(SALU_CYCLE_1) | instskip(NEXT) | instid1(SALU_CYCLE_1)
	s_bitset1_b32 s0, 10
	s_mov_b32 m0, s0
	s_sendmsg sendmsg(MSG_INTERRUPT)
	s_mov_b32 m0, ttmp2
.LBB4_1529:                             ; =>This Inner Loop Header: Depth=1
	s_sethalt 5
	s_branch .LBB4_1529
.LBB4_1530:
	s_trap 2
	s_sendmsg_rtn_b32 s0, sendmsg(MSG_RTN_GET_DOORBELL)
	s_mov_b32 ttmp2, m0
	s_waitcnt lgkmcnt(0)
	s_and_b32 s0, s0, 0x3ff
	s_delay_alu instid0(SALU_CYCLE_1) | instskip(NEXT) | instid1(SALU_CYCLE_1)
	s_bitset1_b32 s0, 10
	s_mov_b32 m0, s0
	s_sendmsg sendmsg(MSG_INTERRUPT)
	s_mov_b32 m0, ttmp2
.LBB4_1531:                             ; =>This Inner Loop Header: Depth=1
	s_sethalt 5
	s_branch .LBB4_1531
.LBB4_1532:
	s_trap 2
	s_sendmsg_rtn_b32 s0, sendmsg(MSG_RTN_GET_DOORBELL)
	s_mov_b32 ttmp2, m0
	s_waitcnt lgkmcnt(0)
	s_and_b32 s0, s0, 0x3ff
	s_delay_alu instid0(SALU_CYCLE_1) | instskip(NEXT) | instid1(SALU_CYCLE_1)
	s_bitset1_b32 s0, 10
	s_mov_b32 m0, s0
	s_sendmsg sendmsg(MSG_INTERRUPT)
	s_mov_b32 m0, ttmp2
.LBB4_1533:                             ; =>This Inner Loop Header: Depth=1
	s_sethalt 5
	s_branch .LBB4_1533
.LBB4_1534:
	s_trap 2
	s_sendmsg_rtn_b32 s0, sendmsg(MSG_RTN_GET_DOORBELL)
	s_mov_b32 ttmp2, m0
	s_waitcnt lgkmcnt(0)
	s_and_b32 s0, s0, 0x3ff
	s_delay_alu instid0(SALU_CYCLE_1) | instskip(NEXT) | instid1(SALU_CYCLE_1)
	s_bitset1_b32 s0, 10
	s_mov_b32 m0, s0
	s_sendmsg sendmsg(MSG_INTERRUPT)
	s_mov_b32 m0, ttmp2
.LBB4_1535:                             ; =>This Inner Loop Header: Depth=1
	s_sethalt 5
	s_branch .LBB4_1535
.LBB4_1536:
	s_trap 2
	s_sendmsg_rtn_b32 s0, sendmsg(MSG_RTN_GET_DOORBELL)
	s_mov_b32 ttmp2, m0
	s_waitcnt lgkmcnt(0)
	s_and_b32 s0, s0, 0x3ff
	s_delay_alu instid0(SALU_CYCLE_1) | instskip(NEXT) | instid1(SALU_CYCLE_1)
	s_bitset1_b32 s0, 10
	s_mov_b32 m0, s0
	s_sendmsg sendmsg(MSG_INTERRUPT)
	s_mov_b32 m0, ttmp2
.LBB4_1537:                             ; =>This Inner Loop Header: Depth=1
	s_sethalt 5
	s_branch .LBB4_1537
.LBB4_1538:
	s_trap 2
	s_sendmsg_rtn_b32 s0, sendmsg(MSG_RTN_GET_DOORBELL)
	s_mov_b32 ttmp2, m0
	s_waitcnt lgkmcnt(0)
	s_and_b32 s0, s0, 0x3ff
	s_delay_alu instid0(SALU_CYCLE_1) | instskip(NEXT) | instid1(SALU_CYCLE_1)
	s_bitset1_b32 s0, 10
	s_mov_b32 m0, s0
	s_sendmsg sendmsg(MSG_INTERRUPT)
	s_mov_b32 m0, ttmp2
.LBB4_1539:                             ; =>This Inner Loop Header: Depth=1
	s_sethalt 5
	s_branch .LBB4_1539
.LBB4_1540:
	s_trap 2
	s_sendmsg_rtn_b32 s0, sendmsg(MSG_RTN_GET_DOORBELL)
	s_mov_b32 ttmp2, m0
	s_waitcnt lgkmcnt(0)
	s_and_b32 s0, s0, 0x3ff
	s_delay_alu instid0(SALU_CYCLE_1) | instskip(NEXT) | instid1(SALU_CYCLE_1)
	s_bitset1_b32 s0, 10
	s_mov_b32 m0, s0
	s_sendmsg sendmsg(MSG_INTERRUPT)
	s_mov_b32 m0, ttmp2
.LBB4_1541:                             ; =>This Inner Loop Header: Depth=1
	s_sethalt 5
	s_branch .LBB4_1541
.LBB4_1542:
	s_trap 2
	s_sendmsg_rtn_b32 s0, sendmsg(MSG_RTN_GET_DOORBELL)
	s_mov_b32 ttmp2, m0
	s_waitcnt lgkmcnt(0)
	s_and_b32 s0, s0, 0x3ff
	s_delay_alu instid0(SALU_CYCLE_1) | instskip(NEXT) | instid1(SALU_CYCLE_1)
	s_bitset1_b32 s0, 10
	s_mov_b32 m0, s0
	s_sendmsg sendmsg(MSG_INTERRUPT)
	s_mov_b32 m0, ttmp2
.LBB4_1543:                             ; =>This Inner Loop Header: Depth=1
	s_sethalt 5
	s_branch .LBB4_1543
.LBB4_1544:
	s_trap 2
	s_sendmsg_rtn_b32 s0, sendmsg(MSG_RTN_GET_DOORBELL)
	s_mov_b32 ttmp2, m0
	s_waitcnt lgkmcnt(0)
	s_and_b32 s0, s0, 0x3ff
	s_delay_alu instid0(SALU_CYCLE_1) | instskip(NEXT) | instid1(SALU_CYCLE_1)
	s_bitset1_b32 s0, 10
	s_mov_b32 m0, s0
	s_sendmsg sendmsg(MSG_INTERRUPT)
	s_mov_b32 m0, ttmp2
.LBB4_1545:                             ; =>This Inner Loop Header: Depth=1
	s_sethalt 5
	s_branch .LBB4_1545
.LBB4_1546:
	s_trap 2
	s_sendmsg_rtn_b32 s0, sendmsg(MSG_RTN_GET_DOORBELL)
	s_mov_b32 ttmp2, m0
	s_waitcnt lgkmcnt(0)
	s_and_b32 s0, s0, 0x3ff
	s_delay_alu instid0(SALU_CYCLE_1) | instskip(NEXT) | instid1(SALU_CYCLE_1)
	s_bitset1_b32 s0, 10
	s_mov_b32 m0, s0
	s_sendmsg sendmsg(MSG_INTERRUPT)
	s_mov_b32 m0, ttmp2
.LBB4_1547:                             ; =>This Inner Loop Header: Depth=1
	s_sethalt 5
	s_branch .LBB4_1547
.LBB4_1548:
	s_trap 2
	s_sendmsg_rtn_b32 s0, sendmsg(MSG_RTN_GET_DOORBELL)
	s_mov_b32 ttmp2, m0
	s_waitcnt lgkmcnt(0)
	s_and_b32 s0, s0, 0x3ff
	s_delay_alu instid0(SALU_CYCLE_1) | instskip(NEXT) | instid1(SALU_CYCLE_1)
	s_bitset1_b32 s0, 10
	s_mov_b32 m0, s0
	s_sendmsg sendmsg(MSG_INTERRUPT)
	s_mov_b32 m0, ttmp2
.LBB4_1549:                             ; =>This Inner Loop Header: Depth=1
	s_sethalt 5
	s_branch .LBB4_1549
.LBB4_1550:
	s_trap 2
	s_sendmsg_rtn_b32 s0, sendmsg(MSG_RTN_GET_DOORBELL)
	s_mov_b32 ttmp2, m0
	s_waitcnt lgkmcnt(0)
	s_and_b32 s0, s0, 0x3ff
	s_delay_alu instid0(SALU_CYCLE_1) | instskip(NEXT) | instid1(SALU_CYCLE_1)
	s_bitset1_b32 s0, 10
	s_mov_b32 m0, s0
	s_sendmsg sendmsg(MSG_INTERRUPT)
	s_mov_b32 m0, ttmp2
.LBB4_1551:                             ; =>This Inner Loop Header: Depth=1
	s_sethalt 5
	s_branch .LBB4_1551
.LBB4_1552:
	s_trap 2
	s_sendmsg_rtn_b32 s0, sendmsg(MSG_RTN_GET_DOORBELL)
	s_mov_b32 ttmp2, m0
	s_waitcnt lgkmcnt(0)
	s_and_b32 s0, s0, 0x3ff
	s_delay_alu instid0(SALU_CYCLE_1) | instskip(NEXT) | instid1(SALU_CYCLE_1)
	s_bitset1_b32 s0, 10
	s_mov_b32 m0, s0
	s_sendmsg sendmsg(MSG_INTERRUPT)
	s_mov_b32 m0, ttmp2
.LBB4_1553:                             ; =>This Inner Loop Header: Depth=1
	s_sethalt 5
	s_branch .LBB4_1553
.LBB4_1554:
	s_trap 2
	s_sendmsg_rtn_b32 s0, sendmsg(MSG_RTN_GET_DOORBELL)
	s_mov_b32 ttmp2, m0
	s_waitcnt lgkmcnt(0)
	s_and_b32 s0, s0, 0x3ff
	s_delay_alu instid0(SALU_CYCLE_1) | instskip(NEXT) | instid1(SALU_CYCLE_1)
	s_bitset1_b32 s0, 10
	s_mov_b32 m0, s0
	s_sendmsg sendmsg(MSG_INTERRUPT)
	s_mov_b32 m0, ttmp2
.LBB4_1555:                             ; =>This Inner Loop Header: Depth=1
	s_sethalt 5
	s_branch .LBB4_1555
.LBB4_1556:
	s_trap 2
	s_sendmsg_rtn_b32 s0, sendmsg(MSG_RTN_GET_DOORBELL)
	s_mov_b32 ttmp2, m0
	s_waitcnt lgkmcnt(0)
	s_and_b32 s0, s0, 0x3ff
	s_delay_alu instid0(SALU_CYCLE_1) | instskip(NEXT) | instid1(SALU_CYCLE_1)
	s_bitset1_b32 s0, 10
	s_mov_b32 m0, s0
	s_sendmsg sendmsg(MSG_INTERRUPT)
	s_mov_b32 m0, ttmp2
.LBB4_1557:                             ; =>This Inner Loop Header: Depth=1
	s_sethalt 5
	s_branch .LBB4_1557
.LBB4_1558:
	s_trap 2
	s_sendmsg_rtn_b32 s0, sendmsg(MSG_RTN_GET_DOORBELL)
	s_mov_b32 ttmp2, m0
	s_waitcnt lgkmcnt(0)
	s_and_b32 s0, s0, 0x3ff
	s_delay_alu instid0(SALU_CYCLE_1) | instskip(NEXT) | instid1(SALU_CYCLE_1)
	s_bitset1_b32 s0, 10
	s_mov_b32 m0, s0
	s_sendmsg sendmsg(MSG_INTERRUPT)
	s_mov_b32 m0, ttmp2
.LBB4_1559:                             ; =>This Inner Loop Header: Depth=1
	s_sethalt 5
	s_branch .LBB4_1559
.LBB4_1560:
	s_trap 2
	s_sendmsg_rtn_b32 s0, sendmsg(MSG_RTN_GET_DOORBELL)
	s_mov_b32 ttmp2, m0
	s_waitcnt lgkmcnt(0)
	s_and_b32 s0, s0, 0x3ff
	s_delay_alu instid0(SALU_CYCLE_1) | instskip(NEXT) | instid1(SALU_CYCLE_1)
	s_bitset1_b32 s0, 10
	s_mov_b32 m0, s0
	s_sendmsg sendmsg(MSG_INTERRUPT)
	s_mov_b32 m0, ttmp2
.LBB4_1561:                             ; =>This Inner Loop Header: Depth=1
	s_sethalt 5
	s_branch .LBB4_1561
.LBB4_1562:
	s_trap 2
	s_sendmsg_rtn_b32 s0, sendmsg(MSG_RTN_GET_DOORBELL)
	s_mov_b32 ttmp2, m0
	s_waitcnt lgkmcnt(0)
	s_and_b32 s0, s0, 0x3ff
	s_delay_alu instid0(SALU_CYCLE_1) | instskip(NEXT) | instid1(SALU_CYCLE_1)
	s_bitset1_b32 s0, 10
	s_mov_b32 m0, s0
	s_sendmsg sendmsg(MSG_INTERRUPT)
	s_mov_b32 m0, ttmp2
.LBB4_1563:                             ; =>This Inner Loop Header: Depth=1
	s_sethalt 5
	s_branch .LBB4_1563
.LBB4_1564:
	s_trap 2
	s_sendmsg_rtn_b32 s0, sendmsg(MSG_RTN_GET_DOORBELL)
	s_mov_b32 ttmp2, m0
	s_waitcnt lgkmcnt(0)
	s_and_b32 s0, s0, 0x3ff
	s_delay_alu instid0(SALU_CYCLE_1) | instskip(NEXT) | instid1(SALU_CYCLE_1)
	s_bitset1_b32 s0, 10
	s_mov_b32 m0, s0
	s_sendmsg sendmsg(MSG_INTERRUPT)
	s_mov_b32 m0, ttmp2
.LBB4_1565:                             ; =>This Inner Loop Header: Depth=1
	s_sethalt 5
	s_branch .LBB4_1565
.LBB4_1566:
	s_trap 2
	s_sendmsg_rtn_b32 s0, sendmsg(MSG_RTN_GET_DOORBELL)
	s_mov_b32 ttmp2, m0
	s_waitcnt lgkmcnt(0)
	s_and_b32 s0, s0, 0x3ff
	s_delay_alu instid0(SALU_CYCLE_1) | instskip(NEXT) | instid1(SALU_CYCLE_1)
	s_bitset1_b32 s0, 10
	s_mov_b32 m0, s0
	s_sendmsg sendmsg(MSG_INTERRUPT)
	s_mov_b32 m0, ttmp2
.LBB4_1567:                             ; =>This Inner Loop Header: Depth=1
	s_sethalt 5
	s_branch .LBB4_1567
.LBB4_1568:
	s_trap 2
	s_sendmsg_rtn_b32 s0, sendmsg(MSG_RTN_GET_DOORBELL)
	s_mov_b32 ttmp2, m0
	s_waitcnt lgkmcnt(0)
	s_and_b32 s0, s0, 0x3ff
	s_delay_alu instid0(SALU_CYCLE_1) | instskip(NEXT) | instid1(SALU_CYCLE_1)
	s_bitset1_b32 s0, 10
	s_mov_b32 m0, s0
	s_sendmsg sendmsg(MSG_INTERRUPT)
	s_mov_b32 m0, ttmp2
.LBB4_1569:                             ; =>This Inner Loop Header: Depth=1
	s_sethalt 5
	s_branch .LBB4_1569
.LBB4_1570:
	s_trap 2
	s_sendmsg_rtn_b32 s0, sendmsg(MSG_RTN_GET_DOORBELL)
	s_mov_b32 ttmp2, m0
	s_waitcnt lgkmcnt(0)
	s_and_b32 s0, s0, 0x3ff
	s_delay_alu instid0(SALU_CYCLE_1) | instskip(NEXT) | instid1(SALU_CYCLE_1)
	s_bitset1_b32 s0, 10
	s_mov_b32 m0, s0
	s_sendmsg sendmsg(MSG_INTERRUPT)
	s_mov_b32 m0, ttmp2
.LBB4_1571:                             ; =>This Inner Loop Header: Depth=1
	s_sethalt 5
	s_branch .LBB4_1571
.LBB4_1572:
	s_trap 2
	s_sendmsg_rtn_b32 s0, sendmsg(MSG_RTN_GET_DOORBELL)
	s_mov_b32 ttmp2, m0
	s_waitcnt lgkmcnt(0)
	s_and_b32 s0, s0, 0x3ff
	s_delay_alu instid0(SALU_CYCLE_1) | instskip(NEXT) | instid1(SALU_CYCLE_1)
	s_bitset1_b32 s0, 10
	s_mov_b32 m0, s0
	s_sendmsg sendmsg(MSG_INTERRUPT)
	s_mov_b32 m0, ttmp2
.LBB4_1573:                             ; =>This Inner Loop Header: Depth=1
	s_sethalt 5
	s_branch .LBB4_1573
.LBB4_1574:
	s_trap 2
	s_sendmsg_rtn_b32 s0, sendmsg(MSG_RTN_GET_DOORBELL)
	s_mov_b32 ttmp2, m0
	s_waitcnt lgkmcnt(0)
	s_and_b32 s0, s0, 0x3ff
	s_delay_alu instid0(SALU_CYCLE_1) | instskip(NEXT) | instid1(SALU_CYCLE_1)
	s_bitset1_b32 s0, 10
	s_mov_b32 m0, s0
	s_sendmsg sendmsg(MSG_INTERRUPT)
	s_mov_b32 m0, ttmp2
.LBB4_1575:                             ; =>This Inner Loop Header: Depth=1
	s_sethalt 5
	s_branch .LBB4_1575
.LBB4_1576:
	s_trap 2
	s_sendmsg_rtn_b32 s0, sendmsg(MSG_RTN_GET_DOORBELL)
	s_mov_b32 ttmp2, m0
	s_waitcnt lgkmcnt(0)
	s_and_b32 s0, s0, 0x3ff
	s_delay_alu instid0(SALU_CYCLE_1) | instskip(NEXT) | instid1(SALU_CYCLE_1)
	s_bitset1_b32 s0, 10
	s_mov_b32 m0, s0
	s_sendmsg sendmsg(MSG_INTERRUPT)
	s_mov_b32 m0, ttmp2
.LBB4_1577:                             ; =>This Inner Loop Header: Depth=1
	s_sethalt 5
	s_branch .LBB4_1577
.LBB4_1578:
	s_trap 2
	s_sendmsg_rtn_b32 s0, sendmsg(MSG_RTN_GET_DOORBELL)
	s_mov_b32 ttmp2, m0
	s_waitcnt lgkmcnt(0)
	s_and_b32 s0, s0, 0x3ff
	s_delay_alu instid0(SALU_CYCLE_1) | instskip(NEXT) | instid1(SALU_CYCLE_1)
	s_bitset1_b32 s0, 10
	s_mov_b32 m0, s0
	s_sendmsg sendmsg(MSG_INTERRUPT)
	s_mov_b32 m0, ttmp2
.LBB4_1579:                             ; =>This Inner Loop Header: Depth=1
	s_sethalt 5
	s_branch .LBB4_1579
.LBB4_1580:
	s_trap 2
	s_sendmsg_rtn_b32 s0, sendmsg(MSG_RTN_GET_DOORBELL)
	s_mov_b32 ttmp2, m0
	s_waitcnt lgkmcnt(0)
	s_and_b32 s0, s0, 0x3ff
	s_delay_alu instid0(SALU_CYCLE_1) | instskip(NEXT) | instid1(SALU_CYCLE_1)
	s_bitset1_b32 s0, 10
	s_mov_b32 m0, s0
	s_sendmsg sendmsg(MSG_INTERRUPT)
	s_mov_b32 m0, ttmp2
.LBB4_1581:                             ; =>This Inner Loop Header: Depth=1
	s_sethalt 5
	s_branch .LBB4_1581
.LBB4_1582:
	s_trap 2
	s_sendmsg_rtn_b32 s0, sendmsg(MSG_RTN_GET_DOORBELL)
	s_mov_b32 ttmp2, m0
	s_waitcnt lgkmcnt(0)
	s_and_b32 s0, s0, 0x3ff
	s_delay_alu instid0(SALU_CYCLE_1) | instskip(NEXT) | instid1(SALU_CYCLE_1)
	s_bitset1_b32 s0, 10
	s_mov_b32 m0, s0
	s_sendmsg sendmsg(MSG_INTERRUPT)
	s_mov_b32 m0, ttmp2
.LBB4_1583:                             ; =>This Inner Loop Header: Depth=1
	s_sethalt 5
	s_branch .LBB4_1583
.LBB4_1584:
	s_trap 2
	s_sendmsg_rtn_b32 s0, sendmsg(MSG_RTN_GET_DOORBELL)
	s_mov_b32 ttmp2, m0
	s_waitcnt lgkmcnt(0)
	s_and_b32 s0, s0, 0x3ff
	s_delay_alu instid0(SALU_CYCLE_1) | instskip(NEXT) | instid1(SALU_CYCLE_1)
	s_bitset1_b32 s0, 10
	s_mov_b32 m0, s0
	s_sendmsg sendmsg(MSG_INTERRUPT)
	s_mov_b32 m0, ttmp2
.LBB4_1585:                             ; =>This Inner Loop Header: Depth=1
	s_sethalt 5
	s_branch .LBB4_1585
.LBB4_1586:
	s_trap 2
	s_sendmsg_rtn_b32 s0, sendmsg(MSG_RTN_GET_DOORBELL)
	s_mov_b32 ttmp2, m0
	s_waitcnt lgkmcnt(0)
	s_and_b32 s0, s0, 0x3ff
	s_delay_alu instid0(SALU_CYCLE_1) | instskip(NEXT) | instid1(SALU_CYCLE_1)
	s_bitset1_b32 s0, 10
	s_mov_b32 m0, s0
	s_sendmsg sendmsg(MSG_INTERRUPT)
	s_mov_b32 m0, ttmp2
.LBB4_1587:                             ; =>This Inner Loop Header: Depth=1
	s_sethalt 5
	s_branch .LBB4_1587
.LBB4_1588:
	s_trap 2
	s_sendmsg_rtn_b32 s0, sendmsg(MSG_RTN_GET_DOORBELL)
	s_mov_b32 ttmp2, m0
	s_waitcnt lgkmcnt(0)
	s_and_b32 s0, s0, 0x3ff
	s_delay_alu instid0(SALU_CYCLE_1) | instskip(NEXT) | instid1(SALU_CYCLE_1)
	s_bitset1_b32 s0, 10
	s_mov_b32 m0, s0
	s_sendmsg sendmsg(MSG_INTERRUPT)
	s_mov_b32 m0, ttmp2
.LBB4_1589:                             ; =>This Inner Loop Header: Depth=1
	s_sethalt 5
	s_branch .LBB4_1589
.LBB4_1590:
	s_trap 2
	s_sendmsg_rtn_b32 s0, sendmsg(MSG_RTN_GET_DOORBELL)
	s_mov_b32 ttmp2, m0
	s_waitcnt lgkmcnt(0)
	s_and_b32 s0, s0, 0x3ff
	s_delay_alu instid0(SALU_CYCLE_1) | instskip(NEXT) | instid1(SALU_CYCLE_1)
	s_bitset1_b32 s0, 10
	s_mov_b32 m0, s0
	s_sendmsg sendmsg(MSG_INTERRUPT)
	s_mov_b32 m0, ttmp2
.LBB4_1591:                             ; =>This Inner Loop Header: Depth=1
	s_sethalt 5
	s_branch .LBB4_1591
.LBB4_1592:
	s_trap 2
	s_sendmsg_rtn_b32 s0, sendmsg(MSG_RTN_GET_DOORBELL)
	s_mov_b32 ttmp2, m0
	s_waitcnt lgkmcnt(0)
	s_and_b32 s0, s0, 0x3ff
	s_delay_alu instid0(SALU_CYCLE_1) | instskip(NEXT) | instid1(SALU_CYCLE_1)
	s_bitset1_b32 s0, 10
	s_mov_b32 m0, s0
	s_sendmsg sendmsg(MSG_INTERRUPT)
	s_mov_b32 m0, ttmp2
.LBB4_1593:                             ; =>This Inner Loop Header: Depth=1
	s_sethalt 5
	s_branch .LBB4_1593
.LBB4_1594:
	s_trap 2
	s_sendmsg_rtn_b32 s0, sendmsg(MSG_RTN_GET_DOORBELL)
	s_mov_b32 ttmp2, m0
	s_waitcnt lgkmcnt(0)
	s_and_b32 s0, s0, 0x3ff
	s_delay_alu instid0(SALU_CYCLE_1) | instskip(NEXT) | instid1(SALU_CYCLE_1)
	s_bitset1_b32 s0, 10
	s_mov_b32 m0, s0
	s_sendmsg sendmsg(MSG_INTERRUPT)
	s_mov_b32 m0, ttmp2
.LBB4_1595:                             ; =>This Inner Loop Header: Depth=1
	s_sethalt 5
	s_branch .LBB4_1595
.LBB4_1596:
	s_trap 2
	s_sendmsg_rtn_b32 s0, sendmsg(MSG_RTN_GET_DOORBELL)
	s_mov_b32 ttmp2, m0
	s_waitcnt lgkmcnt(0)
	s_and_b32 s0, s0, 0x3ff
	s_delay_alu instid0(SALU_CYCLE_1) | instskip(NEXT) | instid1(SALU_CYCLE_1)
	s_bitset1_b32 s0, 10
	s_mov_b32 m0, s0
	s_sendmsg sendmsg(MSG_INTERRUPT)
	s_mov_b32 m0, ttmp2
.LBB4_1597:                             ; =>This Inner Loop Header: Depth=1
	s_sethalt 5
	s_branch .LBB4_1597
.LBB4_1598:
	s_trap 2
	s_sendmsg_rtn_b32 s0, sendmsg(MSG_RTN_GET_DOORBELL)
	s_mov_b32 ttmp2, m0
	s_waitcnt lgkmcnt(0)
	s_and_b32 s0, s0, 0x3ff
	s_delay_alu instid0(SALU_CYCLE_1) | instskip(NEXT) | instid1(SALU_CYCLE_1)
	s_bitset1_b32 s0, 10
	s_mov_b32 m0, s0
	s_sendmsg sendmsg(MSG_INTERRUPT)
	s_mov_b32 m0, ttmp2
.LBB4_1599:                             ; =>This Inner Loop Header: Depth=1
	s_sethalt 5
	s_branch .LBB4_1599
.LBB4_1600:
	s_trap 2
	s_sendmsg_rtn_b32 s0, sendmsg(MSG_RTN_GET_DOORBELL)
	s_mov_b32 ttmp2, m0
	s_waitcnt lgkmcnt(0)
	s_and_b32 s0, s0, 0x3ff
	s_delay_alu instid0(SALU_CYCLE_1) | instskip(NEXT) | instid1(SALU_CYCLE_1)
	s_bitset1_b32 s0, 10
	s_mov_b32 m0, s0
	s_sendmsg sendmsg(MSG_INTERRUPT)
	s_mov_b32 m0, ttmp2
.LBB4_1601:                             ; =>This Inner Loop Header: Depth=1
	s_sethalt 5
	s_branch .LBB4_1601
.LBB4_1602:
	s_trap 2
	s_sendmsg_rtn_b32 s0, sendmsg(MSG_RTN_GET_DOORBELL)
	s_mov_b32 ttmp2, m0
	s_waitcnt lgkmcnt(0)
	s_and_b32 s0, s0, 0x3ff
	s_delay_alu instid0(SALU_CYCLE_1) | instskip(NEXT) | instid1(SALU_CYCLE_1)
	s_bitset1_b32 s0, 10
	s_mov_b32 m0, s0
	s_sendmsg sendmsg(MSG_INTERRUPT)
	s_mov_b32 m0, ttmp2
.LBB4_1603:                             ; =>This Inner Loop Header: Depth=1
	s_sethalt 5
	s_branch .LBB4_1603
.LBB4_1604:
	s_trap 2
	s_sendmsg_rtn_b32 s0, sendmsg(MSG_RTN_GET_DOORBELL)
	s_mov_b32 ttmp2, m0
	s_waitcnt lgkmcnt(0)
	s_and_b32 s0, s0, 0x3ff
	s_delay_alu instid0(SALU_CYCLE_1) | instskip(NEXT) | instid1(SALU_CYCLE_1)
	s_bitset1_b32 s0, 10
	s_mov_b32 m0, s0
	s_sendmsg sendmsg(MSG_INTERRUPT)
	s_mov_b32 m0, ttmp2
.LBB4_1605:                             ; =>This Inner Loop Header: Depth=1
	s_sethalt 5
	s_branch .LBB4_1605
.LBB4_1606:
	s_trap 2
	s_sendmsg_rtn_b32 s0, sendmsg(MSG_RTN_GET_DOORBELL)
	s_mov_b32 ttmp2, m0
	s_waitcnt lgkmcnt(0)
	s_and_b32 s0, s0, 0x3ff
	s_delay_alu instid0(SALU_CYCLE_1) | instskip(NEXT) | instid1(SALU_CYCLE_1)
	s_bitset1_b32 s0, 10
	s_mov_b32 m0, s0
	s_sendmsg sendmsg(MSG_INTERRUPT)
	s_mov_b32 m0, ttmp2
.LBB4_1607:                             ; =>This Inner Loop Header: Depth=1
	s_sethalt 5
	s_branch .LBB4_1607
.LBB4_1608:
	s_trap 2
	s_sendmsg_rtn_b32 s0, sendmsg(MSG_RTN_GET_DOORBELL)
	s_mov_b32 ttmp2, m0
	s_waitcnt lgkmcnt(0)
	s_and_b32 s0, s0, 0x3ff
	s_delay_alu instid0(SALU_CYCLE_1) | instskip(NEXT) | instid1(SALU_CYCLE_1)
	s_bitset1_b32 s0, 10
	s_mov_b32 m0, s0
	s_sendmsg sendmsg(MSG_INTERRUPT)
	s_mov_b32 m0, ttmp2
.LBB4_1609:                             ; =>This Inner Loop Header: Depth=1
	s_sethalt 5
	s_branch .LBB4_1609
.LBB4_1610:
	s_trap 2
	s_sendmsg_rtn_b32 s0, sendmsg(MSG_RTN_GET_DOORBELL)
	s_mov_b32 ttmp2, m0
	s_waitcnt lgkmcnt(0)
	s_and_b32 s0, s0, 0x3ff
	s_delay_alu instid0(SALU_CYCLE_1) | instskip(NEXT) | instid1(SALU_CYCLE_1)
	s_bitset1_b32 s0, 10
	s_mov_b32 m0, s0
	s_sendmsg sendmsg(MSG_INTERRUPT)
	s_mov_b32 m0, ttmp2
.LBB4_1611:                             ; =>This Inner Loop Header: Depth=1
	s_sethalt 5
	s_branch .LBB4_1611
.LBB4_1612:
	s_trap 2
	s_sendmsg_rtn_b32 s0, sendmsg(MSG_RTN_GET_DOORBELL)
	s_mov_b32 ttmp2, m0
	s_waitcnt lgkmcnt(0)
	s_and_b32 s0, s0, 0x3ff
	s_delay_alu instid0(SALU_CYCLE_1) | instskip(NEXT) | instid1(SALU_CYCLE_1)
	s_bitset1_b32 s0, 10
	s_mov_b32 m0, s0
	s_sendmsg sendmsg(MSG_INTERRUPT)
	s_mov_b32 m0, ttmp2
.LBB4_1613:                             ; =>This Inner Loop Header: Depth=1
	s_sethalt 5
	s_branch .LBB4_1613
.LBB4_1614:
	s_trap 2
	s_sendmsg_rtn_b32 s0, sendmsg(MSG_RTN_GET_DOORBELL)
	s_mov_b32 ttmp2, m0
	s_waitcnt lgkmcnt(0)
	s_and_b32 s0, s0, 0x3ff
	s_delay_alu instid0(SALU_CYCLE_1) | instskip(NEXT) | instid1(SALU_CYCLE_1)
	s_bitset1_b32 s0, 10
	s_mov_b32 m0, s0
	s_sendmsg sendmsg(MSG_INTERRUPT)
	s_mov_b32 m0, ttmp2
.LBB4_1615:                             ; =>This Inner Loop Header: Depth=1
	s_sethalt 5
	s_branch .LBB4_1615
.LBB4_1616:
	s_trap 2
	s_sendmsg_rtn_b32 s0, sendmsg(MSG_RTN_GET_DOORBELL)
	s_mov_b32 ttmp2, m0
	s_waitcnt lgkmcnt(0)
	s_and_b32 s0, s0, 0x3ff
	s_delay_alu instid0(SALU_CYCLE_1) | instskip(NEXT) | instid1(SALU_CYCLE_1)
	s_bitset1_b32 s0, 10
	s_mov_b32 m0, s0
	s_sendmsg sendmsg(MSG_INTERRUPT)
	s_mov_b32 m0, ttmp2
.LBB4_1617:                             ; =>This Inner Loop Header: Depth=1
	s_sethalt 5
	s_branch .LBB4_1617
.LBB4_1618:
	s_trap 2
	s_sendmsg_rtn_b32 s0, sendmsg(MSG_RTN_GET_DOORBELL)
	s_mov_b32 ttmp2, m0
	s_waitcnt lgkmcnt(0)
	s_and_b32 s0, s0, 0x3ff
	s_delay_alu instid0(SALU_CYCLE_1) | instskip(NEXT) | instid1(SALU_CYCLE_1)
	s_bitset1_b32 s0, 10
	s_mov_b32 m0, s0
	s_sendmsg sendmsg(MSG_INTERRUPT)
	s_mov_b32 m0, ttmp2
.LBB4_1619:                             ; =>This Inner Loop Header: Depth=1
	s_sethalt 5
	s_branch .LBB4_1619
.LBB4_1620:
	s_trap 2
	s_sendmsg_rtn_b32 s0, sendmsg(MSG_RTN_GET_DOORBELL)
	s_mov_b32 ttmp2, m0
	s_waitcnt lgkmcnt(0)
	s_and_b32 s0, s0, 0x3ff
	s_delay_alu instid0(SALU_CYCLE_1) | instskip(NEXT) | instid1(SALU_CYCLE_1)
	s_bitset1_b32 s0, 10
	s_mov_b32 m0, s0
	s_sendmsg sendmsg(MSG_INTERRUPT)
	s_mov_b32 m0, ttmp2
.LBB4_1621:                             ; =>This Inner Loop Header: Depth=1
	s_sethalt 5
	s_branch .LBB4_1621
.LBB4_1622:
	s_trap 2
	s_sendmsg_rtn_b32 s0, sendmsg(MSG_RTN_GET_DOORBELL)
	s_mov_b32 ttmp2, m0
	s_waitcnt lgkmcnt(0)
	s_and_b32 s0, s0, 0x3ff
	s_delay_alu instid0(SALU_CYCLE_1) | instskip(NEXT) | instid1(SALU_CYCLE_1)
	s_bitset1_b32 s0, 10
	s_mov_b32 m0, s0
	s_sendmsg sendmsg(MSG_INTERRUPT)
	s_mov_b32 m0, ttmp2
.LBB4_1623:                             ; =>This Inner Loop Header: Depth=1
	s_sethalt 5
	s_branch .LBB4_1623
.LBB4_1624:
	s_trap 2
	s_sendmsg_rtn_b32 s0, sendmsg(MSG_RTN_GET_DOORBELL)
	s_mov_b32 ttmp2, m0
	s_waitcnt lgkmcnt(0)
	s_and_b32 s0, s0, 0x3ff
	s_delay_alu instid0(SALU_CYCLE_1) | instskip(NEXT) | instid1(SALU_CYCLE_1)
	s_bitset1_b32 s0, 10
	s_mov_b32 m0, s0
	s_sendmsg sendmsg(MSG_INTERRUPT)
	s_mov_b32 m0, ttmp2
.LBB4_1625:                             ; =>This Inner Loop Header: Depth=1
	s_sethalt 5
	s_branch .LBB4_1625
.LBB4_1626:
	s_trap 2
	s_sendmsg_rtn_b32 s0, sendmsg(MSG_RTN_GET_DOORBELL)
	s_mov_b32 ttmp2, m0
	s_waitcnt lgkmcnt(0)
	s_and_b32 s0, s0, 0x3ff
	s_delay_alu instid0(SALU_CYCLE_1) | instskip(NEXT) | instid1(SALU_CYCLE_1)
	s_bitset1_b32 s0, 10
	s_mov_b32 m0, s0
	s_sendmsg sendmsg(MSG_INTERRUPT)
	s_mov_b32 m0, ttmp2
.LBB4_1627:                             ; =>This Inner Loop Header: Depth=1
	s_sethalt 5
	s_branch .LBB4_1627
.LBB4_1628:
	s_trap 2
	s_sendmsg_rtn_b32 s0, sendmsg(MSG_RTN_GET_DOORBELL)
	s_mov_b32 ttmp2, m0
	s_waitcnt lgkmcnt(0)
	s_and_b32 s0, s0, 0x3ff
	s_delay_alu instid0(SALU_CYCLE_1) | instskip(NEXT) | instid1(SALU_CYCLE_1)
	s_bitset1_b32 s0, 10
	s_mov_b32 m0, s0
	s_sendmsg sendmsg(MSG_INTERRUPT)
	s_mov_b32 m0, ttmp2
.LBB4_1629:                             ; =>This Inner Loop Header: Depth=1
	s_sethalt 5
	s_branch .LBB4_1629
.LBB4_1630:
	s_trap 2
	s_sendmsg_rtn_b32 s0, sendmsg(MSG_RTN_GET_DOORBELL)
	s_mov_b32 ttmp2, m0
	s_waitcnt lgkmcnt(0)
	s_and_b32 s0, s0, 0x3ff
	s_delay_alu instid0(SALU_CYCLE_1) | instskip(NEXT) | instid1(SALU_CYCLE_1)
	s_bitset1_b32 s0, 10
	s_mov_b32 m0, s0
	s_sendmsg sendmsg(MSG_INTERRUPT)
	s_mov_b32 m0, ttmp2
.LBB4_1631:                             ; =>This Inner Loop Header: Depth=1
	s_sethalt 5
	s_branch .LBB4_1631
.LBB4_1632:
	s_trap 2
	s_sendmsg_rtn_b32 s0, sendmsg(MSG_RTN_GET_DOORBELL)
	s_mov_b32 ttmp2, m0
	s_waitcnt lgkmcnt(0)
	s_and_b32 s0, s0, 0x3ff
	s_delay_alu instid0(SALU_CYCLE_1) | instskip(NEXT) | instid1(SALU_CYCLE_1)
	s_bitset1_b32 s0, 10
	s_mov_b32 m0, s0
	s_sendmsg sendmsg(MSG_INTERRUPT)
	s_mov_b32 m0, ttmp2
.LBB4_1633:                             ; =>This Inner Loop Header: Depth=1
	s_sethalt 5
	s_branch .LBB4_1633
.LBB4_1634:
	s_trap 2
	s_sendmsg_rtn_b32 s0, sendmsg(MSG_RTN_GET_DOORBELL)
	s_mov_b32 ttmp2, m0
	s_waitcnt lgkmcnt(0)
	s_and_b32 s0, s0, 0x3ff
	s_delay_alu instid0(SALU_CYCLE_1) | instskip(NEXT) | instid1(SALU_CYCLE_1)
	s_bitset1_b32 s0, 10
	s_mov_b32 m0, s0
	s_sendmsg sendmsg(MSG_INTERRUPT)
	s_mov_b32 m0, ttmp2
.LBB4_1635:                             ; =>This Inner Loop Header: Depth=1
	s_sethalt 5
	s_branch .LBB4_1635
.LBB4_1636:
	s_trap 2
	s_sendmsg_rtn_b32 s0, sendmsg(MSG_RTN_GET_DOORBELL)
	s_mov_b32 ttmp2, m0
	s_waitcnt lgkmcnt(0)
	s_and_b32 s0, s0, 0x3ff
	s_delay_alu instid0(SALU_CYCLE_1) | instskip(NEXT) | instid1(SALU_CYCLE_1)
	s_bitset1_b32 s0, 10
	s_mov_b32 m0, s0
	s_sendmsg sendmsg(MSG_INTERRUPT)
	s_mov_b32 m0, ttmp2
.LBB4_1637:                             ; =>This Inner Loop Header: Depth=1
	s_sethalt 5
	s_branch .LBB4_1637
.LBB4_1638:
	s_trap 2
	s_sendmsg_rtn_b32 s0, sendmsg(MSG_RTN_GET_DOORBELL)
	s_mov_b32 ttmp2, m0
	s_waitcnt lgkmcnt(0)
	s_and_b32 s0, s0, 0x3ff
	s_delay_alu instid0(SALU_CYCLE_1) | instskip(NEXT) | instid1(SALU_CYCLE_1)
	s_bitset1_b32 s0, 10
	s_mov_b32 m0, s0
	s_sendmsg sendmsg(MSG_INTERRUPT)
	s_mov_b32 m0, ttmp2
.LBB4_1639:                             ; =>This Inner Loop Header: Depth=1
	s_sethalt 5
	s_branch .LBB4_1639
.LBB4_1640:
	s_trap 2
	s_sendmsg_rtn_b32 s0, sendmsg(MSG_RTN_GET_DOORBELL)
	s_mov_b32 ttmp2, m0
	s_waitcnt lgkmcnt(0)
	s_and_b32 s0, s0, 0x3ff
	s_delay_alu instid0(SALU_CYCLE_1) | instskip(NEXT) | instid1(SALU_CYCLE_1)
	s_bitset1_b32 s0, 10
	s_mov_b32 m0, s0
	s_sendmsg sendmsg(MSG_INTERRUPT)
	s_mov_b32 m0, ttmp2
.LBB4_1641:                             ; =>This Inner Loop Header: Depth=1
	s_sethalt 5
	s_branch .LBB4_1641
.LBB4_1642:
	s_trap 2
	s_sendmsg_rtn_b32 s0, sendmsg(MSG_RTN_GET_DOORBELL)
	s_mov_b32 ttmp2, m0
	s_waitcnt lgkmcnt(0)
	s_and_b32 s0, s0, 0x3ff
	s_delay_alu instid0(SALU_CYCLE_1) | instskip(NEXT) | instid1(SALU_CYCLE_1)
	s_bitset1_b32 s0, 10
	s_mov_b32 m0, s0
	s_sendmsg sendmsg(MSG_INTERRUPT)
	s_mov_b32 m0, ttmp2
.LBB4_1643:                             ; =>This Inner Loop Header: Depth=1
	s_sethalt 5
	s_branch .LBB4_1643
.LBB4_1644:
	s_trap 2
	s_sendmsg_rtn_b32 s0, sendmsg(MSG_RTN_GET_DOORBELL)
	s_mov_b32 ttmp2, m0
	s_waitcnt lgkmcnt(0)
	s_and_b32 s0, s0, 0x3ff
	s_delay_alu instid0(SALU_CYCLE_1) | instskip(NEXT) | instid1(SALU_CYCLE_1)
	s_bitset1_b32 s0, 10
	s_mov_b32 m0, s0
	s_sendmsg sendmsg(MSG_INTERRUPT)
	s_mov_b32 m0, ttmp2
.LBB4_1645:                             ; =>This Inner Loop Header: Depth=1
	s_sethalt 5
	s_branch .LBB4_1645
.LBB4_1646:
	s_trap 2
	s_sendmsg_rtn_b32 s0, sendmsg(MSG_RTN_GET_DOORBELL)
	s_mov_b32 ttmp2, m0
	s_waitcnt lgkmcnt(0)
	s_and_b32 s0, s0, 0x3ff
	s_delay_alu instid0(SALU_CYCLE_1) | instskip(NEXT) | instid1(SALU_CYCLE_1)
	s_bitset1_b32 s0, 10
	s_mov_b32 m0, s0
	s_sendmsg sendmsg(MSG_INTERRUPT)
	s_mov_b32 m0, ttmp2
.LBB4_1647:                             ; =>This Inner Loop Header: Depth=1
	s_sethalt 5
	s_branch .LBB4_1647
.LBB4_1648:
	s_trap 2
	s_sendmsg_rtn_b32 s0, sendmsg(MSG_RTN_GET_DOORBELL)
	s_mov_b32 ttmp2, m0
	s_waitcnt lgkmcnt(0)
	s_and_b32 s0, s0, 0x3ff
	s_delay_alu instid0(SALU_CYCLE_1) | instskip(NEXT) | instid1(SALU_CYCLE_1)
	s_bitset1_b32 s0, 10
	s_mov_b32 m0, s0
	s_sendmsg sendmsg(MSG_INTERRUPT)
	s_mov_b32 m0, ttmp2
.LBB4_1649:                             ; =>This Inner Loop Header: Depth=1
	s_sethalt 5
	s_branch .LBB4_1649
.LBB4_1650:
	s_trap 2
	s_sendmsg_rtn_b32 s0, sendmsg(MSG_RTN_GET_DOORBELL)
	s_mov_b32 ttmp2, m0
	s_waitcnt lgkmcnt(0)
	s_and_b32 s0, s0, 0x3ff
	s_delay_alu instid0(SALU_CYCLE_1) | instskip(NEXT) | instid1(SALU_CYCLE_1)
	s_bitset1_b32 s0, 10
	s_mov_b32 m0, s0
	s_sendmsg sendmsg(MSG_INTERRUPT)
	s_mov_b32 m0, ttmp2
.LBB4_1651:                             ; =>This Inner Loop Header: Depth=1
	s_sethalt 5
	s_branch .LBB4_1651
.LBB4_1652:
	s_trap 2
	s_sendmsg_rtn_b32 s0, sendmsg(MSG_RTN_GET_DOORBELL)
	s_mov_b32 ttmp2, m0
	s_waitcnt lgkmcnt(0)
	s_and_b32 s0, s0, 0x3ff
	s_delay_alu instid0(SALU_CYCLE_1) | instskip(NEXT) | instid1(SALU_CYCLE_1)
	s_bitset1_b32 s0, 10
	s_mov_b32 m0, s0
	s_sendmsg sendmsg(MSG_INTERRUPT)
	s_mov_b32 m0, ttmp2
.LBB4_1653:                             ; =>This Inner Loop Header: Depth=1
	s_sethalt 5
	s_branch .LBB4_1653
.LBB4_1654:
	s_trap 2
	s_sendmsg_rtn_b32 s0, sendmsg(MSG_RTN_GET_DOORBELL)
	s_mov_b32 ttmp2, m0
	s_waitcnt lgkmcnt(0)
	s_and_b32 s0, s0, 0x3ff
	s_delay_alu instid0(SALU_CYCLE_1) | instskip(NEXT) | instid1(SALU_CYCLE_1)
	s_bitset1_b32 s0, 10
	s_mov_b32 m0, s0
	s_sendmsg sendmsg(MSG_INTERRUPT)
	s_mov_b32 m0, ttmp2
.LBB4_1655:                             ; =>This Inner Loop Header: Depth=1
	s_sethalt 5
	s_branch .LBB4_1655
.LBB4_1656:
	s_trap 2
	s_sendmsg_rtn_b32 s0, sendmsg(MSG_RTN_GET_DOORBELL)
	s_mov_b32 ttmp2, m0
	s_waitcnt lgkmcnt(0)
	s_and_b32 s0, s0, 0x3ff
	s_delay_alu instid0(SALU_CYCLE_1) | instskip(NEXT) | instid1(SALU_CYCLE_1)
	s_bitset1_b32 s0, 10
	s_mov_b32 m0, s0
	s_sendmsg sendmsg(MSG_INTERRUPT)
	s_mov_b32 m0, ttmp2
.LBB4_1657:                             ; =>This Inner Loop Header: Depth=1
	s_sethalt 5
	s_branch .LBB4_1657
.LBB4_1658:
	s_or_b32 exec_lo, exec_lo, s4
	s_and_saveexec_b32 s4, s5
	s_delay_alu instid0(SALU_CYCLE_1)
	s_xor_b32 s4, exec_lo, s4
	s_cbranch_execz .LBB4_1660
; %bb.1659:
	v_mov_b32_e32 v0, 1
	ds_store_b32 v0, v0
	s_cbranch_execnz .LBB4_1748
.LBB4_1660:
	s_or_b32 exec_lo, exec_lo, s3
	;;#ASMSTART
	s_wakeup
	;;#ASMEND
.LBB4_1661:
	s_or_b32 exec_lo, exec_lo, s2
.LBB4_1662:
	s_and_not1_saveexec_b32 s1, s1
	s_cbranch_execz .LBB4_1664
; %bb.1663:
	s_waitcnt lgkmcnt(0)
	s_waitcnt_vscnt null, 0x0
	buffer_gl1_inv
	buffer_gl0_inv
	s_barrier
.LBB4_1664:
	s_or_b32 exec_lo, exec_lo, s0
.LBB4_1665:
	s_and_not1_saveexec_b32 s21, s18
	s_cbranch_execz .LBB4_1667
; %bb.1666:
	s_getpc_b64 s[0:1]
	s_add_u32 s0, s0, __PRETTY_FUNCTION__._ZN10PrimitivesId10FuncMinMaxIdE12FanSymmetricILi1EELi0E11ProtoSimpleILi2ELi2ELi0ELi2ELi0ELi0EELi0ELb0ELi0ELi0ELi0EEC2EiiPKiS8_PKvPvmhhhP15ncclDevWorkCollP14ncclDevWorkP2pii@rel32@lo+4
	s_addc_u32 s1, s1, __PRETTY_FUNCTION__._ZN10PrimitivesId10FuncMinMaxIdE12FanSymmetricILi1EELi0E11ProtoSimpleILi2ELi2ELi0ELi2ELi0ELi0EELi0ELb0ELi0ELi0ELi0EEC2EiiPKiS8_PKvPvmhhhP15ncclDevWorkCollP14ncclDevWorkP2pii@rel32@hi+12
	s_delay_alu instid0(SALU_CYCLE_1) | instskip(SKIP_3) | instid1(SALU_CYCLE_1)
	v_dual_mov_b32 v0, s0 :: v_dual_mov_b32 v1, s1
	s_getpc_b64 s[2:3]
	s_add_u32 s2, s2, __assert_fail@rel32@lo+4
	s_addc_u32 s3, s3, __assert_fail@rel32@hi+12
	s_swappc_b64 s[30:31], s[2:3]
	; divergent unreachable
.LBB4_1667:
	s_or_b32 exec_lo, exec_lo, s21
	scratch_load_b32 v40, off, s33          ; 4-byte Folded Reload
	v_readlane_b32 s30, v41, 8
	v_readlane_b32 s31, v41, 9
	;; [unrolled: 1-line block ×11, first 2 shown]
	s_or_saveexec_b32 s1, -1
	s_clause 0x1
	scratch_load_b32 v41, off, s33 offset:4
	scratch_load_b32 v42, off, s33 offset:8
	s_mov_b32 exec_lo, s1
	s_add_i32 s32, s32, -16
	s_mov_b32 s33, s0
	s_waitcnt vmcnt(0) lgkmcnt(0)
	s_setpc_b64 s[30:31]
.LBB4_1668:
	s_trap 2
	s_sendmsg_rtn_b32 s0, sendmsg(MSG_RTN_GET_DOORBELL)
	s_mov_b32 ttmp2, m0
	s_waitcnt lgkmcnt(0)
	s_and_b32 s0, s0, 0x3ff
	s_delay_alu instid0(SALU_CYCLE_1) | instskip(NEXT) | instid1(SALU_CYCLE_1)
	s_bitset1_b32 s0, 10
	s_mov_b32 m0, s0
	s_sendmsg sendmsg(MSG_INTERRUPT)
	s_mov_b32 m0, ttmp2
.LBB4_1669:                             ; =>This Inner Loop Header: Depth=1
	s_sethalt 5
	s_branch .LBB4_1669
.LBB4_1670:
	s_trap 2
	s_sendmsg_rtn_b32 s0, sendmsg(MSG_RTN_GET_DOORBELL)
	s_mov_b32 ttmp2, m0
	s_waitcnt lgkmcnt(0)
	s_and_b32 s0, s0, 0x3ff
	s_delay_alu instid0(SALU_CYCLE_1) | instskip(NEXT) | instid1(SALU_CYCLE_1)
	s_bitset1_b32 s0, 10
	s_mov_b32 m0, s0
	s_sendmsg sendmsg(MSG_INTERRUPT)
	s_mov_b32 m0, ttmp2
.LBB4_1671:                             ; =>This Inner Loop Header: Depth=1
	s_sethalt 5
	s_branch .LBB4_1671
.LBB4_1672:
	s_trap 2
	s_sendmsg_rtn_b32 s0, sendmsg(MSG_RTN_GET_DOORBELL)
	s_mov_b32 ttmp2, m0
	s_waitcnt lgkmcnt(0)
	s_and_b32 s0, s0, 0x3ff
	s_delay_alu instid0(SALU_CYCLE_1) | instskip(NEXT) | instid1(SALU_CYCLE_1)
	s_bitset1_b32 s0, 10
	s_mov_b32 m0, s0
	s_sendmsg sendmsg(MSG_INTERRUPT)
	s_mov_b32 m0, ttmp2
.LBB4_1673:                             ; =>This Inner Loop Header: Depth=1
	s_sethalt 5
	s_branch .LBB4_1673
.LBB4_1674:
	s_trap 2
	s_sendmsg_rtn_b32 s0, sendmsg(MSG_RTN_GET_DOORBELL)
	s_mov_b32 ttmp2, m0
	s_waitcnt lgkmcnt(0)
	s_and_b32 s0, s0, 0x3ff
	s_delay_alu instid0(SALU_CYCLE_1) | instskip(NEXT) | instid1(SALU_CYCLE_1)
	s_bitset1_b32 s0, 10
	s_mov_b32 m0, s0
	s_sendmsg sendmsg(MSG_INTERRUPT)
	s_mov_b32 m0, ttmp2
.LBB4_1675:                             ; =>This Inner Loop Header: Depth=1
	s_sethalt 5
	s_branch .LBB4_1675
.LBB4_1676:
	s_trap 2
	s_sendmsg_rtn_b32 s0, sendmsg(MSG_RTN_GET_DOORBELL)
	s_mov_b32 ttmp2, m0
	s_waitcnt lgkmcnt(0)
	s_and_b32 s0, s0, 0x3ff
	s_delay_alu instid0(SALU_CYCLE_1) | instskip(NEXT) | instid1(SALU_CYCLE_1)
	s_bitset1_b32 s0, 10
	s_mov_b32 m0, s0
	s_sendmsg sendmsg(MSG_INTERRUPT)
	s_mov_b32 m0, ttmp2
.LBB4_1677:                             ; =>This Inner Loop Header: Depth=1
	s_sethalt 5
	s_branch .LBB4_1677
.LBB4_1678:
	s_trap 2
	s_sendmsg_rtn_b32 s0, sendmsg(MSG_RTN_GET_DOORBELL)
	s_mov_b32 ttmp2, m0
	s_waitcnt lgkmcnt(0)
	s_and_b32 s0, s0, 0x3ff
	s_delay_alu instid0(SALU_CYCLE_1) | instskip(NEXT) | instid1(SALU_CYCLE_1)
	s_bitset1_b32 s0, 10
	s_mov_b32 m0, s0
	s_sendmsg sendmsg(MSG_INTERRUPT)
	s_mov_b32 m0, ttmp2
.LBB4_1679:                             ; =>This Inner Loop Header: Depth=1
	s_sethalt 5
	s_branch .LBB4_1679
.LBB4_1680:
	s_trap 2
	s_sendmsg_rtn_b32 s0, sendmsg(MSG_RTN_GET_DOORBELL)
	s_mov_b32 ttmp2, m0
	s_waitcnt lgkmcnt(0)
	s_and_b32 s0, s0, 0x3ff
	s_delay_alu instid0(SALU_CYCLE_1) | instskip(NEXT) | instid1(SALU_CYCLE_1)
	s_bitset1_b32 s0, 10
	s_mov_b32 m0, s0
	s_sendmsg sendmsg(MSG_INTERRUPT)
	s_mov_b32 m0, ttmp2
.LBB4_1681:                             ; =>This Inner Loop Header: Depth=1
	s_sethalt 5
	s_branch .LBB4_1681
.LBB4_1682:
	s_trap 2
	s_sendmsg_rtn_b32 s0, sendmsg(MSG_RTN_GET_DOORBELL)
	s_mov_b32 ttmp2, m0
	s_waitcnt lgkmcnt(0)
	s_and_b32 s0, s0, 0x3ff
	s_delay_alu instid0(SALU_CYCLE_1) | instskip(NEXT) | instid1(SALU_CYCLE_1)
	s_bitset1_b32 s0, 10
	s_mov_b32 m0, s0
	s_sendmsg sendmsg(MSG_INTERRUPT)
	s_mov_b32 m0, ttmp2
.LBB4_1683:                             ; =>This Inner Loop Header: Depth=1
	s_sethalt 5
	s_branch .LBB4_1683
.LBB4_1684:
	s_trap 2
	s_sendmsg_rtn_b32 s0, sendmsg(MSG_RTN_GET_DOORBELL)
	s_mov_b32 ttmp2, m0
	s_waitcnt lgkmcnt(0)
	s_and_b32 s0, s0, 0x3ff
	s_delay_alu instid0(SALU_CYCLE_1) | instskip(NEXT) | instid1(SALU_CYCLE_1)
	s_bitset1_b32 s0, 10
	s_mov_b32 m0, s0
	s_sendmsg sendmsg(MSG_INTERRUPT)
	s_mov_b32 m0, ttmp2
.LBB4_1685:                             ; =>This Inner Loop Header: Depth=1
	s_sethalt 5
	s_branch .LBB4_1685
.LBB4_1686:
	s_trap 2
	s_sendmsg_rtn_b32 s0, sendmsg(MSG_RTN_GET_DOORBELL)
	s_mov_b32 ttmp2, m0
	s_waitcnt lgkmcnt(0)
	s_and_b32 s0, s0, 0x3ff
	s_delay_alu instid0(SALU_CYCLE_1) | instskip(NEXT) | instid1(SALU_CYCLE_1)
	s_bitset1_b32 s0, 10
	s_mov_b32 m0, s0
	s_sendmsg sendmsg(MSG_INTERRUPT)
	s_mov_b32 m0, ttmp2
.LBB4_1687:                             ; =>This Inner Loop Header: Depth=1
	s_sethalt 5
	s_branch .LBB4_1687
.LBB4_1688:
	s_trap 2
	s_sendmsg_rtn_b32 s0, sendmsg(MSG_RTN_GET_DOORBELL)
	s_mov_b32 ttmp2, m0
	s_waitcnt lgkmcnt(0)
	s_and_b32 s0, s0, 0x3ff
	s_delay_alu instid0(SALU_CYCLE_1) | instskip(NEXT) | instid1(SALU_CYCLE_1)
	s_bitset1_b32 s0, 10
	s_mov_b32 m0, s0
	s_sendmsg sendmsg(MSG_INTERRUPT)
	s_mov_b32 m0, ttmp2
.LBB4_1689:                             ; =>This Inner Loop Header: Depth=1
	s_sethalt 5
	s_branch .LBB4_1689
.LBB4_1690:
	s_trap 2
	s_sendmsg_rtn_b32 s0, sendmsg(MSG_RTN_GET_DOORBELL)
	s_mov_b32 ttmp2, m0
	s_waitcnt lgkmcnt(0)
	s_and_b32 s0, s0, 0x3ff
	s_delay_alu instid0(SALU_CYCLE_1) | instskip(NEXT) | instid1(SALU_CYCLE_1)
	s_bitset1_b32 s0, 10
	s_mov_b32 m0, s0
	s_sendmsg sendmsg(MSG_INTERRUPT)
	s_mov_b32 m0, ttmp2
.LBB4_1691:                             ; =>This Inner Loop Header: Depth=1
	s_sethalt 5
	s_branch .LBB4_1691
.LBB4_1692:
	s_trap 2
	s_sendmsg_rtn_b32 s0, sendmsg(MSG_RTN_GET_DOORBELL)
	s_mov_b32 ttmp2, m0
	s_waitcnt lgkmcnt(0)
	s_and_b32 s0, s0, 0x3ff
	s_delay_alu instid0(SALU_CYCLE_1) | instskip(NEXT) | instid1(SALU_CYCLE_1)
	s_bitset1_b32 s0, 10
	s_mov_b32 m0, s0
	s_sendmsg sendmsg(MSG_INTERRUPT)
	s_mov_b32 m0, ttmp2
.LBB4_1693:                             ; =>This Inner Loop Header: Depth=1
	s_sethalt 5
	s_branch .LBB4_1693
.LBB4_1694:
	s_trap 2
	s_sendmsg_rtn_b32 s0, sendmsg(MSG_RTN_GET_DOORBELL)
	s_mov_b32 ttmp2, m0
	s_waitcnt lgkmcnt(0)
	s_and_b32 s0, s0, 0x3ff
	s_delay_alu instid0(SALU_CYCLE_1) | instskip(NEXT) | instid1(SALU_CYCLE_1)
	s_bitset1_b32 s0, 10
	s_mov_b32 m0, s0
	s_sendmsg sendmsg(MSG_INTERRUPT)
	s_mov_b32 m0, ttmp2
.LBB4_1695:                             ; =>This Inner Loop Header: Depth=1
	s_sethalt 5
	s_branch .LBB4_1695
.LBB4_1696:
	s_trap 2
	s_sendmsg_rtn_b32 s0, sendmsg(MSG_RTN_GET_DOORBELL)
	s_mov_b32 ttmp2, m0
	s_waitcnt lgkmcnt(0)
	s_and_b32 s0, s0, 0x3ff
	s_delay_alu instid0(SALU_CYCLE_1) | instskip(NEXT) | instid1(SALU_CYCLE_1)
	s_bitset1_b32 s0, 10
	s_mov_b32 m0, s0
	s_sendmsg sendmsg(MSG_INTERRUPT)
	s_mov_b32 m0, ttmp2
.LBB4_1697:                             ; =>This Inner Loop Header: Depth=1
	s_sethalt 5
	s_branch .LBB4_1697
.LBB4_1698:
	s_trap 2
	s_sendmsg_rtn_b32 s0, sendmsg(MSG_RTN_GET_DOORBELL)
	s_mov_b32 ttmp2, m0
	s_waitcnt lgkmcnt(0)
	s_and_b32 s0, s0, 0x3ff
	s_delay_alu instid0(SALU_CYCLE_1) | instskip(NEXT) | instid1(SALU_CYCLE_1)
	s_bitset1_b32 s0, 10
	s_mov_b32 m0, s0
	s_sendmsg sendmsg(MSG_INTERRUPT)
	s_mov_b32 m0, ttmp2
.LBB4_1699:                             ; =>This Inner Loop Header: Depth=1
	s_sethalt 5
	s_branch .LBB4_1699
.LBB4_1700:
	s_trap 2
	s_sendmsg_rtn_b32 s0, sendmsg(MSG_RTN_GET_DOORBELL)
	s_mov_b32 ttmp2, m0
	s_waitcnt lgkmcnt(0)
	s_and_b32 s0, s0, 0x3ff
	s_delay_alu instid0(SALU_CYCLE_1) | instskip(NEXT) | instid1(SALU_CYCLE_1)
	s_bitset1_b32 s0, 10
	s_mov_b32 m0, s0
	s_sendmsg sendmsg(MSG_INTERRUPT)
	s_mov_b32 m0, ttmp2
.LBB4_1701:                             ; =>This Inner Loop Header: Depth=1
	s_sethalt 5
	s_branch .LBB4_1701
.LBB4_1702:
	s_trap 2
	s_sendmsg_rtn_b32 s0, sendmsg(MSG_RTN_GET_DOORBELL)
	s_mov_b32 ttmp2, m0
	s_waitcnt lgkmcnt(0)
	s_and_b32 s0, s0, 0x3ff
	s_delay_alu instid0(SALU_CYCLE_1) | instskip(NEXT) | instid1(SALU_CYCLE_1)
	s_bitset1_b32 s0, 10
	s_mov_b32 m0, s0
	s_sendmsg sendmsg(MSG_INTERRUPT)
	s_mov_b32 m0, ttmp2
.LBB4_1703:                             ; =>This Inner Loop Header: Depth=1
	s_sethalt 5
	s_branch .LBB4_1703
.LBB4_1704:
	s_trap 2
	s_sendmsg_rtn_b32 s0, sendmsg(MSG_RTN_GET_DOORBELL)
	s_mov_b32 ttmp2, m0
	s_waitcnt lgkmcnt(0)
	s_and_b32 s0, s0, 0x3ff
	s_delay_alu instid0(SALU_CYCLE_1) | instskip(NEXT) | instid1(SALU_CYCLE_1)
	s_bitset1_b32 s0, 10
	s_mov_b32 m0, s0
	s_sendmsg sendmsg(MSG_INTERRUPT)
	s_mov_b32 m0, ttmp2
.LBB4_1705:                             ; =>This Inner Loop Header: Depth=1
	s_sethalt 5
	s_branch .LBB4_1705
.LBB4_1706:
	s_trap 2
	s_sendmsg_rtn_b32 s0, sendmsg(MSG_RTN_GET_DOORBELL)
	s_mov_b32 ttmp2, m0
	s_waitcnt lgkmcnt(0)
	s_and_b32 s0, s0, 0x3ff
	s_delay_alu instid0(SALU_CYCLE_1) | instskip(NEXT) | instid1(SALU_CYCLE_1)
	s_bitset1_b32 s0, 10
	s_mov_b32 m0, s0
	s_sendmsg sendmsg(MSG_INTERRUPT)
	s_mov_b32 m0, ttmp2
.LBB4_1707:                             ; =>This Inner Loop Header: Depth=1
	s_sethalt 5
	s_branch .LBB4_1707
.LBB4_1708:
	s_trap 2
	s_sendmsg_rtn_b32 s0, sendmsg(MSG_RTN_GET_DOORBELL)
	s_mov_b32 ttmp2, m0
	s_waitcnt lgkmcnt(0)
	s_and_b32 s0, s0, 0x3ff
	s_delay_alu instid0(SALU_CYCLE_1) | instskip(NEXT) | instid1(SALU_CYCLE_1)
	s_bitset1_b32 s0, 10
	s_mov_b32 m0, s0
	s_sendmsg sendmsg(MSG_INTERRUPT)
	s_mov_b32 m0, ttmp2
.LBB4_1709:                             ; =>This Inner Loop Header: Depth=1
	s_sethalt 5
	s_branch .LBB4_1709
.LBB4_1710:
	s_trap 2
	s_sendmsg_rtn_b32 s0, sendmsg(MSG_RTN_GET_DOORBELL)
	s_mov_b32 ttmp2, m0
	s_waitcnt lgkmcnt(0)
	s_and_b32 s0, s0, 0x3ff
	s_delay_alu instid0(SALU_CYCLE_1) | instskip(NEXT) | instid1(SALU_CYCLE_1)
	s_bitset1_b32 s0, 10
	s_mov_b32 m0, s0
	s_sendmsg sendmsg(MSG_INTERRUPT)
	s_mov_b32 m0, ttmp2
.LBB4_1711:                             ; =>This Inner Loop Header: Depth=1
	s_sethalt 5
	s_branch .LBB4_1711
.LBB4_1712:
	s_trap 2
	s_sendmsg_rtn_b32 s0, sendmsg(MSG_RTN_GET_DOORBELL)
	s_mov_b32 ttmp2, m0
	s_waitcnt lgkmcnt(0)
	s_and_b32 s0, s0, 0x3ff
	s_delay_alu instid0(SALU_CYCLE_1) | instskip(NEXT) | instid1(SALU_CYCLE_1)
	s_bitset1_b32 s0, 10
	s_mov_b32 m0, s0
	s_sendmsg sendmsg(MSG_INTERRUPT)
	s_mov_b32 m0, ttmp2
.LBB4_1713:                             ; =>This Inner Loop Header: Depth=1
	s_sethalt 5
	s_branch .LBB4_1713
.LBB4_1714:
	s_trap 2
	s_sendmsg_rtn_b32 s0, sendmsg(MSG_RTN_GET_DOORBELL)
	s_mov_b32 ttmp2, m0
	s_waitcnt lgkmcnt(0)
	s_and_b32 s0, s0, 0x3ff
	s_delay_alu instid0(SALU_CYCLE_1) | instskip(NEXT) | instid1(SALU_CYCLE_1)
	s_bitset1_b32 s0, 10
	s_mov_b32 m0, s0
	s_sendmsg sendmsg(MSG_INTERRUPT)
	s_mov_b32 m0, ttmp2
.LBB4_1715:                             ; =>This Inner Loop Header: Depth=1
	s_sethalt 5
	s_branch .LBB4_1715
.LBB4_1716:
	s_trap 2
	s_sendmsg_rtn_b32 s0, sendmsg(MSG_RTN_GET_DOORBELL)
	s_mov_b32 ttmp2, m0
	s_waitcnt lgkmcnt(0)
	s_and_b32 s0, s0, 0x3ff
	s_delay_alu instid0(SALU_CYCLE_1) | instskip(NEXT) | instid1(SALU_CYCLE_1)
	s_bitset1_b32 s0, 10
	s_mov_b32 m0, s0
	s_sendmsg sendmsg(MSG_INTERRUPT)
	s_mov_b32 m0, ttmp2
.LBB4_1717:                             ; =>This Inner Loop Header: Depth=1
	s_sethalt 5
	s_branch .LBB4_1717
.LBB4_1718:
	s_trap 2
	s_sendmsg_rtn_b32 s0, sendmsg(MSG_RTN_GET_DOORBELL)
	s_mov_b32 ttmp2, m0
	s_waitcnt lgkmcnt(0)
	s_and_b32 s0, s0, 0x3ff
	s_delay_alu instid0(SALU_CYCLE_1) | instskip(NEXT) | instid1(SALU_CYCLE_1)
	s_bitset1_b32 s0, 10
	s_mov_b32 m0, s0
	s_sendmsg sendmsg(MSG_INTERRUPT)
	s_mov_b32 m0, ttmp2
.LBB4_1719:                             ; =>This Inner Loop Header: Depth=1
	s_sethalt 5
	s_branch .LBB4_1719
.LBB4_1720:
	s_trap 2
	s_sendmsg_rtn_b32 s0, sendmsg(MSG_RTN_GET_DOORBELL)
	s_mov_b32 ttmp2, m0
	s_waitcnt lgkmcnt(0)
	s_and_b32 s0, s0, 0x3ff
	s_delay_alu instid0(SALU_CYCLE_1) | instskip(NEXT) | instid1(SALU_CYCLE_1)
	s_bitset1_b32 s0, 10
	s_mov_b32 m0, s0
	s_sendmsg sendmsg(MSG_INTERRUPT)
	s_mov_b32 m0, ttmp2
.LBB4_1721:                             ; =>This Inner Loop Header: Depth=1
	s_sethalt 5
	s_branch .LBB4_1721
.LBB4_1722:
	s_trap 2
	s_sendmsg_rtn_b32 s0, sendmsg(MSG_RTN_GET_DOORBELL)
	s_mov_b32 ttmp2, m0
	s_waitcnt lgkmcnt(0)
	s_and_b32 s0, s0, 0x3ff
	s_delay_alu instid0(SALU_CYCLE_1) | instskip(NEXT) | instid1(SALU_CYCLE_1)
	s_bitset1_b32 s0, 10
	s_mov_b32 m0, s0
	s_sendmsg sendmsg(MSG_INTERRUPT)
	s_mov_b32 m0, ttmp2
.LBB4_1723:                             ; =>This Inner Loop Header: Depth=1
	s_sethalt 5
	s_branch .LBB4_1723
.LBB4_1724:
	s_trap 2
	s_sendmsg_rtn_b32 s0, sendmsg(MSG_RTN_GET_DOORBELL)
	s_mov_b32 ttmp2, m0
	s_waitcnt lgkmcnt(0)
	s_and_b32 s0, s0, 0x3ff
	s_delay_alu instid0(SALU_CYCLE_1) | instskip(NEXT) | instid1(SALU_CYCLE_1)
	s_bitset1_b32 s0, 10
	s_mov_b32 m0, s0
	s_sendmsg sendmsg(MSG_INTERRUPT)
	s_mov_b32 m0, ttmp2
.LBB4_1725:                             ; =>This Inner Loop Header: Depth=1
	s_sethalt 5
	s_branch .LBB4_1725
.LBB4_1726:
	s_trap 2
	s_sendmsg_rtn_b32 s0, sendmsg(MSG_RTN_GET_DOORBELL)
	s_mov_b32 ttmp2, m0
	s_waitcnt lgkmcnt(0)
	s_and_b32 s0, s0, 0x3ff
	s_delay_alu instid0(SALU_CYCLE_1) | instskip(NEXT) | instid1(SALU_CYCLE_1)
	s_bitset1_b32 s0, 10
	s_mov_b32 m0, s0
	s_sendmsg sendmsg(MSG_INTERRUPT)
	s_mov_b32 m0, ttmp2
.LBB4_1727:                             ; =>This Inner Loop Header: Depth=1
	s_sethalt 5
	s_branch .LBB4_1727
.LBB4_1728:
	s_trap 2
	s_sendmsg_rtn_b32 s0, sendmsg(MSG_RTN_GET_DOORBELL)
	s_mov_b32 ttmp2, m0
	s_waitcnt lgkmcnt(0)
	s_and_b32 s0, s0, 0x3ff
	s_delay_alu instid0(SALU_CYCLE_1) | instskip(NEXT) | instid1(SALU_CYCLE_1)
	s_bitset1_b32 s0, 10
	s_mov_b32 m0, s0
	s_sendmsg sendmsg(MSG_INTERRUPT)
	s_mov_b32 m0, ttmp2
.LBB4_1729:                             ; =>This Inner Loop Header: Depth=1
	s_sethalt 5
	s_branch .LBB4_1729
.LBB4_1730:
	s_trap 2
	s_sendmsg_rtn_b32 s0, sendmsg(MSG_RTN_GET_DOORBELL)
	s_mov_b32 ttmp2, m0
	s_waitcnt lgkmcnt(0)
	s_and_b32 s0, s0, 0x3ff
	s_delay_alu instid0(SALU_CYCLE_1) | instskip(NEXT) | instid1(SALU_CYCLE_1)
	s_bitset1_b32 s0, 10
	s_mov_b32 m0, s0
	s_sendmsg sendmsg(MSG_INTERRUPT)
	s_mov_b32 m0, ttmp2
.LBB4_1731:                             ; =>This Inner Loop Header: Depth=1
	s_sethalt 5
	s_branch .LBB4_1731
.LBB4_1732:
	s_trap 2
	s_sendmsg_rtn_b32 s0, sendmsg(MSG_RTN_GET_DOORBELL)
	s_mov_b32 ttmp2, m0
	s_waitcnt lgkmcnt(0)
	s_and_b32 s0, s0, 0x3ff
	s_delay_alu instid0(SALU_CYCLE_1) | instskip(NEXT) | instid1(SALU_CYCLE_1)
	s_bitset1_b32 s0, 10
	s_mov_b32 m0, s0
	s_sendmsg sendmsg(MSG_INTERRUPT)
	s_mov_b32 m0, ttmp2
.LBB4_1733:                             ; =>This Inner Loop Header: Depth=1
	s_sethalt 5
	s_branch .LBB4_1733
.LBB4_1734:
	s_trap 2
	s_sendmsg_rtn_b32 s0, sendmsg(MSG_RTN_GET_DOORBELL)
	s_mov_b32 ttmp2, m0
	s_waitcnt lgkmcnt(0)
	s_and_b32 s0, s0, 0x3ff
	s_delay_alu instid0(SALU_CYCLE_1) | instskip(NEXT) | instid1(SALU_CYCLE_1)
	s_bitset1_b32 s0, 10
	s_mov_b32 m0, s0
	s_sendmsg sendmsg(MSG_INTERRUPT)
	s_mov_b32 m0, ttmp2
.LBB4_1735:                             ; =>This Inner Loop Header: Depth=1
	s_sethalt 5
	s_branch .LBB4_1735
.LBB4_1736:
	s_trap 2
	s_sendmsg_rtn_b32 s0, sendmsg(MSG_RTN_GET_DOORBELL)
	s_mov_b32 ttmp2, m0
	s_waitcnt lgkmcnt(0)
	s_and_b32 s0, s0, 0x3ff
	s_delay_alu instid0(SALU_CYCLE_1) | instskip(NEXT) | instid1(SALU_CYCLE_1)
	s_bitset1_b32 s0, 10
	s_mov_b32 m0, s0
	s_sendmsg sendmsg(MSG_INTERRUPT)
	s_mov_b32 m0, ttmp2
.LBB4_1737:                             ; =>This Inner Loop Header: Depth=1
	s_sethalt 5
	s_branch .LBB4_1737
.LBB4_1738:
	s_trap 2
	s_sendmsg_rtn_b32 s0, sendmsg(MSG_RTN_GET_DOORBELL)
	s_mov_b32 ttmp2, m0
	s_waitcnt lgkmcnt(0)
	s_and_b32 s0, s0, 0x3ff
	s_delay_alu instid0(SALU_CYCLE_1) | instskip(NEXT) | instid1(SALU_CYCLE_1)
	s_bitset1_b32 s0, 10
	s_mov_b32 m0, s0
	s_sendmsg sendmsg(MSG_INTERRUPT)
	s_mov_b32 m0, ttmp2
.LBB4_1739:                             ; =>This Inner Loop Header: Depth=1
	s_sethalt 5
	s_branch .LBB4_1739
.LBB4_1740:
	s_trap 2
	s_sendmsg_rtn_b32 s0, sendmsg(MSG_RTN_GET_DOORBELL)
	s_mov_b32 ttmp2, m0
	s_waitcnt lgkmcnt(0)
	s_and_b32 s0, s0, 0x3ff
	s_delay_alu instid0(SALU_CYCLE_1) | instskip(NEXT) | instid1(SALU_CYCLE_1)
	s_bitset1_b32 s0, 10
	s_mov_b32 m0, s0
	s_sendmsg sendmsg(MSG_INTERRUPT)
	s_mov_b32 m0, ttmp2
.LBB4_1741:                             ; =>This Inner Loop Header: Depth=1
	s_sethalt 5
	s_branch .LBB4_1741
.LBB4_1742:
	s_trap 2
	s_sendmsg_rtn_b32 s0, sendmsg(MSG_RTN_GET_DOORBELL)
	s_mov_b32 ttmp2, m0
	s_waitcnt lgkmcnt(0)
	s_and_b32 s0, s0, 0x3ff
	s_delay_alu instid0(SALU_CYCLE_1) | instskip(NEXT) | instid1(SALU_CYCLE_1)
	s_bitset1_b32 s0, 10
	s_mov_b32 m0, s0
	s_sendmsg sendmsg(MSG_INTERRUPT)
	s_mov_b32 m0, ttmp2
.LBB4_1743:                             ; =>This Inner Loop Header: Depth=1
	s_sethalt 5
	s_branch .LBB4_1743
.LBB4_1744:
	s_trap 2
	s_sendmsg_rtn_b32 s0, sendmsg(MSG_RTN_GET_DOORBELL)
	s_mov_b32 ttmp2, m0
	s_waitcnt lgkmcnt(0)
	s_and_b32 s0, s0, 0x3ff
	s_delay_alu instid0(SALU_CYCLE_1) | instskip(NEXT) | instid1(SALU_CYCLE_1)
	s_bitset1_b32 s0, 10
	s_mov_b32 m0, s0
	s_sendmsg sendmsg(MSG_INTERRUPT)
	s_mov_b32 m0, ttmp2
.LBB4_1745:                             ; =>This Inner Loop Header: Depth=1
	s_sethalt 5
	s_branch .LBB4_1745
.LBB4_1746:
	s_trap 2
	s_sendmsg_rtn_b32 s0, sendmsg(MSG_RTN_GET_DOORBELL)
	s_mov_b32 ttmp2, m0
	s_waitcnt lgkmcnt(0)
	s_and_b32 s0, s0, 0x3ff
	s_delay_alu instid0(SALU_CYCLE_1) | instskip(NEXT) | instid1(SALU_CYCLE_1)
	s_bitset1_b32 s0, 10
	s_mov_b32 m0, s0
	s_sendmsg sendmsg(MSG_INTERRUPT)
	s_mov_b32 m0, ttmp2
.LBB4_1747:                             ; =>This Inner Loop Header: Depth=1
	s_sethalt 5
	s_branch .LBB4_1747
.LBB4_1748:
	s_trap 2
	s_sendmsg_rtn_b32 s0, sendmsg(MSG_RTN_GET_DOORBELL)
	s_mov_b32 ttmp2, m0
	s_waitcnt lgkmcnt(0)
	s_and_b32 s0, s0, 0x3ff
	s_delay_alu instid0(SALU_CYCLE_1) | instskip(NEXT) | instid1(SALU_CYCLE_1)
	s_bitset1_b32 s0, 10
	s_mov_b32 m0, s0
	s_sendmsg sendmsg(MSG_INTERRUPT)
	s_mov_b32 m0, ttmp2
.LBB4_1749:                             ; =>This Inner Loop Header: Depth=1
	s_sethalt 5
	s_branch .LBB4_1749
.LBB4_1750:
	s_trap 2
	s_sendmsg_rtn_b32 s0, sendmsg(MSG_RTN_GET_DOORBELL)
	s_mov_b32 ttmp2, m0
	s_waitcnt lgkmcnt(0)
	s_and_b32 s0, s0, 0x3ff
	s_delay_alu instid0(SALU_CYCLE_1) | instskip(NEXT) | instid1(SALU_CYCLE_1)
	s_bitset1_b32 s0, 10
	s_mov_b32 m0, s0
	s_sendmsg sendmsg(MSG_INTERRUPT)
	s_mov_b32 m0, ttmp2
.LBB4_1751:                             ; =>This Inner Loop Header: Depth=1
	s_sethalt 5
	s_branch .LBB4_1751
.LBB4_1752:
	s_trap 2
	s_sendmsg_rtn_b32 s0, sendmsg(MSG_RTN_GET_DOORBELL)
	s_mov_b32 ttmp2, m0
	s_waitcnt lgkmcnt(0)
	s_and_b32 s0, s0, 0x3ff
	s_delay_alu instid0(SALU_CYCLE_1) | instskip(NEXT) | instid1(SALU_CYCLE_1)
	s_bitset1_b32 s0, 10
	s_mov_b32 m0, s0
	s_sendmsg sendmsg(MSG_INTERRUPT)
	s_mov_b32 m0, ttmp2
.LBB4_1753:                             ; =>This Inner Loop Header: Depth=1
	s_sethalt 5
	s_branch .LBB4_1753
.LBB4_1754:
	s_trap 2
	s_sendmsg_rtn_b32 s0, sendmsg(MSG_RTN_GET_DOORBELL)
	s_mov_b32 ttmp2, m0
	s_waitcnt lgkmcnt(0)
	s_and_b32 s0, s0, 0x3ff
	s_delay_alu instid0(SALU_CYCLE_1) | instskip(NEXT) | instid1(SALU_CYCLE_1)
	s_bitset1_b32 s0, 10
	s_mov_b32 m0, s0
	s_sendmsg sendmsg(MSG_INTERRUPT)
	s_mov_b32 m0, ttmp2
.LBB4_1755:                             ; =>This Inner Loop Header: Depth=1
	s_sethalt 5
	s_branch .LBB4_1755
.LBB4_1756:
	s_trap 2
	s_sendmsg_rtn_b32 s0, sendmsg(MSG_RTN_GET_DOORBELL)
	s_mov_b32 ttmp2, m0
	s_waitcnt lgkmcnt(0)
	s_and_b32 s0, s0, 0x3ff
	s_delay_alu instid0(SALU_CYCLE_1) | instskip(NEXT) | instid1(SALU_CYCLE_1)
	s_bitset1_b32 s0, 10
	s_mov_b32 m0, s0
	s_sendmsg sendmsg(MSG_INTERRUPT)
	s_mov_b32 m0, ttmp2
.LBB4_1757:                             ; =>This Inner Loop Header: Depth=1
	s_sethalt 5
	s_branch .LBB4_1757
.LBB4_1758:
	s_trap 2
	s_sendmsg_rtn_b32 s0, sendmsg(MSG_RTN_GET_DOORBELL)
	s_mov_b32 ttmp2, m0
	s_waitcnt lgkmcnt(0)
	s_and_b32 s0, s0, 0x3ff
	s_delay_alu instid0(SALU_CYCLE_1) | instskip(NEXT) | instid1(SALU_CYCLE_1)
	s_bitset1_b32 s0, 10
	s_mov_b32 m0, s0
	s_sendmsg sendmsg(MSG_INTERRUPT)
	s_mov_b32 m0, ttmp2
.LBB4_1759:                             ; =>This Inner Loop Header: Depth=1
	s_sethalt 5
	s_branch .LBB4_1759
.LBB4_1760:
	s_trap 2
	s_sendmsg_rtn_b32 s0, sendmsg(MSG_RTN_GET_DOORBELL)
	s_mov_b32 ttmp2, m0
	s_waitcnt lgkmcnt(0)
	s_and_b32 s0, s0, 0x3ff
	s_delay_alu instid0(SALU_CYCLE_1) | instskip(NEXT) | instid1(SALU_CYCLE_1)
	s_bitset1_b32 s0, 10
	s_mov_b32 m0, s0
	s_sendmsg sendmsg(MSG_INTERRUPT)
	s_mov_b32 m0, ttmp2
.LBB4_1761:                             ; =>This Inner Loop Header: Depth=1
	s_sethalt 5
	s_branch .LBB4_1761
.LBB4_1762:
	s_trap 2
	s_sendmsg_rtn_b32 s0, sendmsg(MSG_RTN_GET_DOORBELL)
	s_mov_b32 ttmp2, m0
	s_waitcnt lgkmcnt(0)
	s_and_b32 s0, s0, 0x3ff
	s_delay_alu instid0(SALU_CYCLE_1) | instskip(NEXT) | instid1(SALU_CYCLE_1)
	s_bitset1_b32 s0, 10
	s_mov_b32 m0, s0
	s_sendmsg sendmsg(MSG_INTERRUPT)
	s_mov_b32 m0, ttmp2
.LBB4_1763:                             ; =>This Inner Loop Header: Depth=1
	s_sethalt 5
	s_branch .LBB4_1763
.LBB4_1764:
	s_trap 2
	s_sendmsg_rtn_b32 s0, sendmsg(MSG_RTN_GET_DOORBELL)
	s_mov_b32 ttmp2, m0
	s_waitcnt lgkmcnt(0)
	s_and_b32 s0, s0, 0x3ff
	s_delay_alu instid0(SALU_CYCLE_1) | instskip(NEXT) | instid1(SALU_CYCLE_1)
	s_bitset1_b32 s0, 10
	s_mov_b32 m0, s0
	s_sendmsg sendmsg(MSG_INTERRUPT)
	s_mov_b32 m0, ttmp2
.LBB4_1765:                             ; =>This Inner Loop Header: Depth=1
	s_sethalt 5
	s_branch .LBB4_1765
.LBB4_1766:
	s_trap 2
	s_sendmsg_rtn_b32 s0, sendmsg(MSG_RTN_GET_DOORBELL)
	s_mov_b32 ttmp2, m0
	s_waitcnt lgkmcnt(0)
	s_and_b32 s0, s0, 0x3ff
	s_delay_alu instid0(SALU_CYCLE_1) | instskip(NEXT) | instid1(SALU_CYCLE_1)
	s_bitset1_b32 s0, 10
	s_mov_b32 m0, s0
	s_sendmsg sendmsg(MSG_INTERRUPT)
	s_mov_b32 m0, ttmp2
.LBB4_1767:                             ; =>This Inner Loop Header: Depth=1
	s_sethalt 5
	s_branch .LBB4_1767
.LBB4_1768:
	s_trap 2
	s_sendmsg_rtn_b32 s0, sendmsg(MSG_RTN_GET_DOORBELL)
	s_mov_b32 ttmp2, m0
	s_waitcnt lgkmcnt(0)
	s_and_b32 s0, s0, 0x3ff
	s_delay_alu instid0(SALU_CYCLE_1) | instskip(NEXT) | instid1(SALU_CYCLE_1)
	s_bitset1_b32 s0, 10
	s_mov_b32 m0, s0
	s_sendmsg sendmsg(MSG_INTERRUPT)
	s_mov_b32 m0, ttmp2
.LBB4_1769:                             ; =>This Inner Loop Header: Depth=1
	s_sethalt 5
	s_branch .LBB4_1769
.LBB4_1770:
	s_trap 2
	s_sendmsg_rtn_b32 s0, sendmsg(MSG_RTN_GET_DOORBELL)
	s_mov_b32 ttmp2, m0
	s_waitcnt lgkmcnt(0)
	s_and_b32 s0, s0, 0x3ff
	s_delay_alu instid0(SALU_CYCLE_1) | instskip(NEXT) | instid1(SALU_CYCLE_1)
	s_bitset1_b32 s0, 10
	s_mov_b32 m0, s0
	s_sendmsg sendmsg(MSG_INTERRUPT)
	s_mov_b32 m0, ttmp2
.LBB4_1771:                             ; =>This Inner Loop Header: Depth=1
	s_sethalt 5
	s_branch .LBB4_1771
.LBB4_1772:
	s_trap 2
	s_sendmsg_rtn_b32 s0, sendmsg(MSG_RTN_GET_DOORBELL)
	s_mov_b32 ttmp2, m0
	s_waitcnt lgkmcnt(0)
	s_and_b32 s0, s0, 0x3ff
	s_delay_alu instid0(SALU_CYCLE_1) | instskip(NEXT) | instid1(SALU_CYCLE_1)
	s_bitset1_b32 s0, 10
	s_mov_b32 m0, s0
	s_sendmsg sendmsg(MSG_INTERRUPT)
	s_mov_b32 m0, ttmp2
.LBB4_1773:                             ; =>This Inner Loop Header: Depth=1
	s_sethalt 5
	s_branch .LBB4_1773
.LBB4_1774:
	s_trap 2
	s_sendmsg_rtn_b32 s0, sendmsg(MSG_RTN_GET_DOORBELL)
	s_mov_b32 ttmp2, m0
	s_waitcnt lgkmcnt(0)
	s_and_b32 s0, s0, 0x3ff
	s_delay_alu instid0(SALU_CYCLE_1) | instskip(NEXT) | instid1(SALU_CYCLE_1)
	s_bitset1_b32 s0, 10
	s_mov_b32 m0, s0
	s_sendmsg sendmsg(MSG_INTERRUPT)
	s_mov_b32 m0, ttmp2
.LBB4_1775:                             ; =>This Inner Loop Header: Depth=1
	s_sethalt 5
	s_branch .LBB4_1775
.LBB4_1776:
	s_trap 2
	s_sendmsg_rtn_b32 s0, sendmsg(MSG_RTN_GET_DOORBELL)
	s_mov_b32 ttmp2, m0
	s_waitcnt lgkmcnt(0)
	s_and_b32 s0, s0, 0x3ff
	s_delay_alu instid0(SALU_CYCLE_1) | instskip(NEXT) | instid1(SALU_CYCLE_1)
	s_bitset1_b32 s0, 10
	s_mov_b32 m0, s0
	s_sendmsg sendmsg(MSG_INTERRUPT)
	s_mov_b32 m0, ttmp2
.LBB4_1777:                             ; =>This Inner Loop Header: Depth=1
	s_sethalt 5
	s_branch .LBB4_1777
.LBB4_1778:
	s_trap 2
	s_sendmsg_rtn_b32 s0, sendmsg(MSG_RTN_GET_DOORBELL)
	s_mov_b32 ttmp2, m0
	s_waitcnt lgkmcnt(0)
	s_and_b32 s0, s0, 0x3ff
	s_delay_alu instid0(SALU_CYCLE_1) | instskip(NEXT) | instid1(SALU_CYCLE_1)
	s_bitset1_b32 s0, 10
	s_mov_b32 m0, s0
	s_sendmsg sendmsg(MSG_INTERRUPT)
	s_mov_b32 m0, ttmp2
.LBB4_1779:                             ; =>This Inner Loop Header: Depth=1
	s_sethalt 5
	s_branch .LBB4_1779
.LBB4_1780:
	s_trap 2
	s_sendmsg_rtn_b32 s0, sendmsg(MSG_RTN_GET_DOORBELL)
	s_mov_b32 ttmp2, m0
	s_waitcnt lgkmcnt(0)
	s_and_b32 s0, s0, 0x3ff
	s_delay_alu instid0(SALU_CYCLE_1) | instskip(NEXT) | instid1(SALU_CYCLE_1)
	s_bitset1_b32 s0, 10
	s_mov_b32 m0, s0
	s_sendmsg sendmsg(MSG_INTERRUPT)
	s_mov_b32 m0, ttmp2
.LBB4_1781:                             ; =>This Inner Loop Header: Depth=1
	s_sethalt 5
	s_branch .LBB4_1781
.LBB4_1782:
	s_trap 2
	s_sendmsg_rtn_b32 s0, sendmsg(MSG_RTN_GET_DOORBELL)
	s_mov_b32 ttmp2, m0
	s_waitcnt lgkmcnt(0)
	s_and_b32 s0, s0, 0x3ff
	s_delay_alu instid0(SALU_CYCLE_1) | instskip(NEXT) | instid1(SALU_CYCLE_1)
	s_bitset1_b32 s0, 10
	s_mov_b32 m0, s0
	s_sendmsg sendmsg(MSG_INTERRUPT)
	s_mov_b32 m0, ttmp2
.LBB4_1783:                             ; =>This Inner Loop Header: Depth=1
	s_sethalt 5
	s_branch .LBB4_1783
.LBB4_1784:
	s_trap 2
	s_sendmsg_rtn_b32 s0, sendmsg(MSG_RTN_GET_DOORBELL)
	s_mov_b32 ttmp2, m0
	s_waitcnt lgkmcnt(0)
	s_and_b32 s0, s0, 0x3ff
	s_delay_alu instid0(SALU_CYCLE_1) | instskip(NEXT) | instid1(SALU_CYCLE_1)
	s_bitset1_b32 s0, 10
	s_mov_b32 m0, s0
	s_sendmsg sendmsg(MSG_INTERRUPT)
	s_mov_b32 m0, ttmp2
.LBB4_1785:                             ; =>This Inner Loop Header: Depth=1
	s_sethalt 5
	s_branch .LBB4_1785
.LBB4_1786:
	s_trap 2
	s_sendmsg_rtn_b32 s0, sendmsg(MSG_RTN_GET_DOORBELL)
	s_mov_b32 ttmp2, m0
	s_waitcnt lgkmcnt(0)
	s_and_b32 s0, s0, 0x3ff
	s_delay_alu instid0(SALU_CYCLE_1) | instskip(NEXT) | instid1(SALU_CYCLE_1)
	s_bitset1_b32 s0, 10
	s_mov_b32 m0, s0
	s_sendmsg sendmsg(MSG_INTERRUPT)
	s_mov_b32 m0, ttmp2
.LBB4_1787:                             ; =>This Inner Loop Header: Depth=1
	s_sethalt 5
	s_branch .LBB4_1787
.LBB4_1788:
	s_trap 2
	s_sendmsg_rtn_b32 s0, sendmsg(MSG_RTN_GET_DOORBELL)
	s_mov_b32 ttmp2, m0
	s_waitcnt lgkmcnt(0)
	s_and_b32 s0, s0, 0x3ff
	s_delay_alu instid0(SALU_CYCLE_1) | instskip(NEXT) | instid1(SALU_CYCLE_1)
	s_bitset1_b32 s0, 10
	s_mov_b32 m0, s0
	s_sendmsg sendmsg(MSG_INTERRUPT)
	s_mov_b32 m0, ttmp2
.LBB4_1789:                             ; =>This Inner Loop Header: Depth=1
	s_sethalt 5
	s_branch .LBB4_1789
.LBB4_1790:
	s_trap 2
	s_sendmsg_rtn_b32 s0, sendmsg(MSG_RTN_GET_DOORBELL)
	s_mov_b32 ttmp2, m0
	s_waitcnt lgkmcnt(0)
	s_and_b32 s0, s0, 0x3ff
	s_delay_alu instid0(SALU_CYCLE_1) | instskip(NEXT) | instid1(SALU_CYCLE_1)
	s_bitset1_b32 s0, 10
	s_mov_b32 m0, s0
	s_sendmsg sendmsg(MSG_INTERRUPT)
	s_mov_b32 m0, ttmp2
.LBB4_1791:                             ; =>This Inner Loop Header: Depth=1
	s_sethalt 5
	s_branch .LBB4_1791
.LBB4_1792:
	s_trap 2
	s_sendmsg_rtn_b32 s0, sendmsg(MSG_RTN_GET_DOORBELL)
	s_mov_b32 ttmp2, m0
	s_waitcnt lgkmcnt(0)
	s_and_b32 s0, s0, 0x3ff
	s_delay_alu instid0(SALU_CYCLE_1) | instskip(NEXT) | instid1(SALU_CYCLE_1)
	s_bitset1_b32 s0, 10
	s_mov_b32 m0, s0
	s_sendmsg sendmsg(MSG_INTERRUPT)
	s_mov_b32 m0, ttmp2
.LBB4_1793:                             ; =>This Inner Loop Header: Depth=1
	s_sethalt 5
	s_branch .LBB4_1793
.LBB4_1794:
	s_trap 2
	s_sendmsg_rtn_b32 s0, sendmsg(MSG_RTN_GET_DOORBELL)
	s_mov_b32 ttmp2, m0
	s_waitcnt lgkmcnt(0)
	s_and_b32 s0, s0, 0x3ff
	s_delay_alu instid0(SALU_CYCLE_1) | instskip(NEXT) | instid1(SALU_CYCLE_1)
	s_bitset1_b32 s0, 10
	s_mov_b32 m0, s0
	s_sendmsg sendmsg(MSG_INTERRUPT)
	s_mov_b32 m0, ttmp2
.LBB4_1795:                             ; =>This Inner Loop Header: Depth=1
	s_sethalt 5
	s_branch .LBB4_1795
.LBB4_1796:
	s_trap 2
	s_sendmsg_rtn_b32 s0, sendmsg(MSG_RTN_GET_DOORBELL)
	s_mov_b32 ttmp2, m0
	s_waitcnt lgkmcnt(0)
	s_and_b32 s0, s0, 0x3ff
	s_delay_alu instid0(SALU_CYCLE_1) | instskip(NEXT) | instid1(SALU_CYCLE_1)
	s_bitset1_b32 s0, 10
	s_mov_b32 m0, s0
	s_sendmsg sendmsg(MSG_INTERRUPT)
	s_mov_b32 m0, ttmp2
.LBB4_1797:                             ; =>This Inner Loop Header: Depth=1
	s_sethalt 5
	s_branch .LBB4_1797
.LBB4_1798:
	s_trap 2
	s_sendmsg_rtn_b32 s0, sendmsg(MSG_RTN_GET_DOORBELL)
	s_mov_b32 ttmp2, m0
	s_waitcnt lgkmcnt(0)
	s_and_b32 s0, s0, 0x3ff
	s_delay_alu instid0(SALU_CYCLE_1) | instskip(NEXT) | instid1(SALU_CYCLE_1)
	s_bitset1_b32 s0, 10
	s_mov_b32 m0, s0
	s_sendmsg sendmsg(MSG_INTERRUPT)
	s_mov_b32 m0, ttmp2
.LBB4_1799:                             ; =>This Inner Loop Header: Depth=1
	s_sethalt 5
	s_branch .LBB4_1799
.LBB4_1800:
	s_trap 2
	s_sendmsg_rtn_b32 s0, sendmsg(MSG_RTN_GET_DOORBELL)
	s_mov_b32 ttmp2, m0
	s_waitcnt lgkmcnt(0)
	s_and_b32 s0, s0, 0x3ff
	s_delay_alu instid0(SALU_CYCLE_1) | instskip(NEXT) | instid1(SALU_CYCLE_1)
	s_bitset1_b32 s0, 10
	s_mov_b32 m0, s0
	s_sendmsg sendmsg(MSG_INTERRUPT)
	s_mov_b32 m0, ttmp2
.LBB4_1801:                             ; =>This Inner Loop Header: Depth=1
	s_sethalt 5
	s_branch .LBB4_1801
.LBB4_1802:
	s_trap 2
	s_sendmsg_rtn_b32 s0, sendmsg(MSG_RTN_GET_DOORBELL)
	s_mov_b32 ttmp2, m0
	s_waitcnt lgkmcnt(0)
	s_and_b32 s0, s0, 0x3ff
	s_delay_alu instid0(SALU_CYCLE_1) | instskip(NEXT) | instid1(SALU_CYCLE_1)
	s_bitset1_b32 s0, 10
	s_mov_b32 m0, s0
	s_sendmsg sendmsg(MSG_INTERRUPT)
	s_mov_b32 m0, ttmp2
.LBB4_1803:                             ; =>This Inner Loop Header: Depth=1
	s_sethalt 5
	s_branch .LBB4_1803
.LBB4_1804:
	s_trap 2
	s_sendmsg_rtn_b32 s0, sendmsg(MSG_RTN_GET_DOORBELL)
	s_mov_b32 ttmp2, m0
	s_waitcnt lgkmcnt(0)
	s_and_b32 s0, s0, 0x3ff
	s_delay_alu instid0(SALU_CYCLE_1) | instskip(NEXT) | instid1(SALU_CYCLE_1)
	s_bitset1_b32 s0, 10
	s_mov_b32 m0, s0
	s_sendmsg sendmsg(MSG_INTERRUPT)
	s_mov_b32 m0, ttmp2
.LBB4_1805:                             ; =>This Inner Loop Header: Depth=1
	s_sethalt 5
	s_branch .LBB4_1805
.LBB4_1806:
	s_trap 2
	s_sendmsg_rtn_b32 s0, sendmsg(MSG_RTN_GET_DOORBELL)
	s_mov_b32 ttmp2, m0
	s_waitcnt lgkmcnt(0)
	s_and_b32 s0, s0, 0x3ff
	s_delay_alu instid0(SALU_CYCLE_1) | instskip(NEXT) | instid1(SALU_CYCLE_1)
	s_bitset1_b32 s0, 10
	s_mov_b32 m0, s0
	s_sendmsg sendmsg(MSG_INTERRUPT)
	s_mov_b32 m0, ttmp2
.LBB4_1807:                             ; =>This Inner Loop Header: Depth=1
	s_sethalt 5
	s_branch .LBB4_1807
.LBB4_1808:
	s_trap 2
	s_sendmsg_rtn_b32 s0, sendmsg(MSG_RTN_GET_DOORBELL)
	s_mov_b32 ttmp2, m0
	s_waitcnt lgkmcnt(0)
	s_and_b32 s0, s0, 0x3ff
	s_delay_alu instid0(SALU_CYCLE_1) | instskip(NEXT) | instid1(SALU_CYCLE_1)
	s_bitset1_b32 s0, 10
	s_mov_b32 m0, s0
	s_sendmsg sendmsg(MSG_INTERRUPT)
	s_mov_b32 m0, ttmp2
.LBB4_1809:                             ; =>This Inner Loop Header: Depth=1
	s_sethalt 5
	s_branch .LBB4_1809
.LBB4_1810:
	s_trap 2
	s_sendmsg_rtn_b32 s0, sendmsg(MSG_RTN_GET_DOORBELL)
	s_mov_b32 ttmp2, m0
	s_waitcnt lgkmcnt(0)
	s_and_b32 s0, s0, 0x3ff
	s_delay_alu instid0(SALU_CYCLE_1) | instskip(NEXT) | instid1(SALU_CYCLE_1)
	s_bitset1_b32 s0, 10
	s_mov_b32 m0, s0
	s_sendmsg sendmsg(MSG_INTERRUPT)
	s_mov_b32 m0, ttmp2
.LBB4_1811:                             ; =>This Inner Loop Header: Depth=1
	s_sethalt 5
	s_branch .LBB4_1811
.LBB4_1812:
	s_trap 2
	s_sendmsg_rtn_b32 s0, sendmsg(MSG_RTN_GET_DOORBELL)
	s_mov_b32 ttmp2, m0
	s_waitcnt lgkmcnt(0)
	s_and_b32 s0, s0, 0x3ff
	s_delay_alu instid0(SALU_CYCLE_1) | instskip(NEXT) | instid1(SALU_CYCLE_1)
	s_bitset1_b32 s0, 10
	s_mov_b32 m0, s0
	s_sendmsg sendmsg(MSG_INTERRUPT)
	s_mov_b32 m0, ttmp2
.LBB4_1813:                             ; =>This Inner Loop Header: Depth=1
	s_sethalt 5
	s_branch .LBB4_1813
.LBB4_1814:
	s_trap 2
	s_sendmsg_rtn_b32 s0, sendmsg(MSG_RTN_GET_DOORBELL)
	s_mov_b32 ttmp2, m0
	s_waitcnt lgkmcnt(0)
	s_and_b32 s0, s0, 0x3ff
	s_delay_alu instid0(SALU_CYCLE_1) | instskip(NEXT) | instid1(SALU_CYCLE_1)
	s_bitset1_b32 s0, 10
	s_mov_b32 m0, s0
	s_sendmsg sendmsg(MSG_INTERRUPT)
	s_mov_b32 m0, ttmp2
.LBB4_1815:                             ; =>This Inner Loop Header: Depth=1
	s_sethalt 5
	s_branch .LBB4_1815
.LBB4_1816:
	s_trap 2
	s_sendmsg_rtn_b32 s0, sendmsg(MSG_RTN_GET_DOORBELL)
	s_mov_b32 ttmp2, m0
	s_waitcnt lgkmcnt(0)
	s_and_b32 s0, s0, 0x3ff
	s_delay_alu instid0(SALU_CYCLE_1) | instskip(NEXT) | instid1(SALU_CYCLE_1)
	s_bitset1_b32 s0, 10
	s_mov_b32 m0, s0
	s_sendmsg sendmsg(MSG_INTERRUPT)
	s_mov_b32 m0, ttmp2
.LBB4_1817:                             ; =>This Inner Loop Header: Depth=1
	s_sethalt 5
	s_branch .LBB4_1817
.LBB4_1818:
	s_trap 2
	s_sendmsg_rtn_b32 s0, sendmsg(MSG_RTN_GET_DOORBELL)
	s_mov_b32 ttmp2, m0
	s_waitcnt lgkmcnt(0)
	s_and_b32 s0, s0, 0x3ff
	s_delay_alu instid0(SALU_CYCLE_1) | instskip(NEXT) | instid1(SALU_CYCLE_1)
	s_bitset1_b32 s0, 10
	s_mov_b32 m0, s0
	s_sendmsg sendmsg(MSG_INTERRUPT)
	s_mov_b32 m0, ttmp2
.LBB4_1819:                             ; =>This Inner Loop Header: Depth=1
	s_sethalt 5
	s_branch .LBB4_1819
.LBB4_1820:
	s_trap 2
	s_sendmsg_rtn_b32 s0, sendmsg(MSG_RTN_GET_DOORBELL)
	s_mov_b32 ttmp2, m0
	s_waitcnt lgkmcnt(0)
	s_and_b32 s0, s0, 0x3ff
	s_delay_alu instid0(SALU_CYCLE_1) | instskip(NEXT) | instid1(SALU_CYCLE_1)
	s_bitset1_b32 s0, 10
	s_mov_b32 m0, s0
	s_sendmsg sendmsg(MSG_INTERRUPT)
	s_mov_b32 m0, ttmp2
.LBB4_1821:                             ; =>This Inner Loop Header: Depth=1
	s_sethalt 5
	s_branch .LBB4_1821
.LBB4_1822:
	s_trap 2
	s_sendmsg_rtn_b32 s0, sendmsg(MSG_RTN_GET_DOORBELL)
	s_mov_b32 ttmp2, m0
	s_waitcnt lgkmcnt(0)
	s_and_b32 s0, s0, 0x3ff
	s_delay_alu instid0(SALU_CYCLE_1) | instskip(NEXT) | instid1(SALU_CYCLE_1)
	s_bitset1_b32 s0, 10
	s_mov_b32 m0, s0
	s_sendmsg sendmsg(MSG_INTERRUPT)
	s_mov_b32 m0, ttmp2
.LBB4_1823:                             ; =>This Inner Loop Header: Depth=1
	s_sethalt 5
	s_branch .LBB4_1823
.LBB4_1824:
	s_trap 2
	s_sendmsg_rtn_b32 s0, sendmsg(MSG_RTN_GET_DOORBELL)
	s_mov_b32 ttmp2, m0
	s_waitcnt lgkmcnt(0)
	s_and_b32 s0, s0, 0x3ff
	s_delay_alu instid0(SALU_CYCLE_1) | instskip(NEXT) | instid1(SALU_CYCLE_1)
	s_bitset1_b32 s0, 10
	s_mov_b32 m0, s0
	s_sendmsg sendmsg(MSG_INTERRUPT)
	s_mov_b32 m0, ttmp2
.LBB4_1825:                             ; =>This Inner Loop Header: Depth=1
	s_sethalt 5
	s_branch .LBB4_1825
.LBB4_1826:
	s_trap 2
	s_sendmsg_rtn_b32 s0, sendmsg(MSG_RTN_GET_DOORBELL)
	s_mov_b32 ttmp2, m0
	s_waitcnt lgkmcnt(0)
	s_and_b32 s0, s0, 0x3ff
	s_delay_alu instid0(SALU_CYCLE_1) | instskip(NEXT) | instid1(SALU_CYCLE_1)
	s_bitset1_b32 s0, 10
	s_mov_b32 m0, s0
	s_sendmsg sendmsg(MSG_INTERRUPT)
	s_mov_b32 m0, ttmp2
.LBB4_1827:                             ; =>This Inner Loop Header: Depth=1
	s_sethalt 5
	s_branch .LBB4_1827
.LBB4_1828:
	s_trap 2
	s_sendmsg_rtn_b32 s0, sendmsg(MSG_RTN_GET_DOORBELL)
	s_mov_b32 ttmp2, m0
	s_waitcnt lgkmcnt(0)
	s_and_b32 s0, s0, 0x3ff
	s_delay_alu instid0(SALU_CYCLE_1) | instskip(NEXT) | instid1(SALU_CYCLE_1)
	s_bitset1_b32 s0, 10
	s_mov_b32 m0, s0
	s_sendmsg sendmsg(MSG_INTERRUPT)
	s_mov_b32 m0, ttmp2
.LBB4_1829:                             ; =>This Inner Loop Header: Depth=1
	s_sethalt 5
	s_branch .LBB4_1829
.LBB4_1830:
	s_trap 2
	s_sendmsg_rtn_b32 s0, sendmsg(MSG_RTN_GET_DOORBELL)
	s_mov_b32 ttmp2, m0
	s_waitcnt lgkmcnt(0)
	s_and_b32 s0, s0, 0x3ff
	s_delay_alu instid0(SALU_CYCLE_1) | instskip(NEXT) | instid1(SALU_CYCLE_1)
	s_bitset1_b32 s0, 10
	s_mov_b32 m0, s0
	s_sendmsg sendmsg(MSG_INTERRUPT)
	s_mov_b32 m0, ttmp2
.LBB4_1831:                             ; =>This Inner Loop Header: Depth=1
	s_sethalt 5
	s_branch .LBB4_1831
.LBB4_1832:
	s_trap 2
	s_sendmsg_rtn_b32 s0, sendmsg(MSG_RTN_GET_DOORBELL)
	s_mov_b32 ttmp2, m0
	s_waitcnt lgkmcnt(0)
	s_and_b32 s0, s0, 0x3ff
	s_delay_alu instid0(SALU_CYCLE_1) | instskip(NEXT) | instid1(SALU_CYCLE_1)
	s_bitset1_b32 s0, 10
	s_mov_b32 m0, s0
	s_sendmsg sendmsg(MSG_INTERRUPT)
	s_mov_b32 m0, ttmp2
.LBB4_1833:                             ; =>This Inner Loop Header: Depth=1
	s_sethalt 5
	s_branch .LBB4_1833
.LBB4_1834:
	s_trap 2
	s_sendmsg_rtn_b32 s0, sendmsg(MSG_RTN_GET_DOORBELL)
	s_mov_b32 ttmp2, m0
	s_waitcnt lgkmcnt(0)
	s_and_b32 s0, s0, 0x3ff
	s_delay_alu instid0(SALU_CYCLE_1) | instskip(NEXT) | instid1(SALU_CYCLE_1)
	s_bitset1_b32 s0, 10
	s_mov_b32 m0, s0
	s_sendmsg sendmsg(MSG_INTERRUPT)
	s_mov_b32 m0, ttmp2
.LBB4_1835:                             ; =>This Inner Loop Header: Depth=1
	s_sethalt 5
	s_branch .LBB4_1835
.LBB4_1836:
	s_trap 2
	s_sendmsg_rtn_b32 s0, sendmsg(MSG_RTN_GET_DOORBELL)
	s_mov_b32 ttmp2, m0
	s_waitcnt lgkmcnt(0)
	s_and_b32 s0, s0, 0x3ff
	s_delay_alu instid0(SALU_CYCLE_1) | instskip(NEXT) | instid1(SALU_CYCLE_1)
	s_bitset1_b32 s0, 10
	s_mov_b32 m0, s0
	s_sendmsg sendmsg(MSG_INTERRUPT)
	s_mov_b32 m0, ttmp2
.LBB4_1837:                             ; =>This Inner Loop Header: Depth=1
	s_sethalt 5
	s_branch .LBB4_1837
.LBB4_1838:
	s_trap 2
	s_sendmsg_rtn_b32 s0, sendmsg(MSG_RTN_GET_DOORBELL)
	s_mov_b32 ttmp2, m0
	s_waitcnt lgkmcnt(0)
	s_and_b32 s0, s0, 0x3ff
	s_delay_alu instid0(SALU_CYCLE_1) | instskip(NEXT) | instid1(SALU_CYCLE_1)
	s_bitset1_b32 s0, 10
	s_mov_b32 m0, s0
	s_sendmsg sendmsg(MSG_INTERRUPT)
	s_mov_b32 m0, ttmp2
.LBB4_1839:                             ; =>This Inner Loop Header: Depth=1
	s_sethalt 5
	s_branch .LBB4_1839
.LBB4_1840:
	s_trap 2
	s_sendmsg_rtn_b32 s0, sendmsg(MSG_RTN_GET_DOORBELL)
	s_mov_b32 ttmp2, m0
	s_waitcnt lgkmcnt(0)
	s_and_b32 s0, s0, 0x3ff
	s_delay_alu instid0(SALU_CYCLE_1) | instskip(NEXT) | instid1(SALU_CYCLE_1)
	s_bitset1_b32 s0, 10
	s_mov_b32 m0, s0
	s_sendmsg sendmsg(MSG_INTERRUPT)
	s_mov_b32 m0, ttmp2
.LBB4_1841:                             ; =>This Inner Loop Header: Depth=1
	s_sethalt 5
	s_branch .LBB4_1841
.LBB4_1842:
	s_trap 2
	s_sendmsg_rtn_b32 s0, sendmsg(MSG_RTN_GET_DOORBELL)
	s_mov_b32 ttmp2, m0
	s_waitcnt lgkmcnt(0)
	s_and_b32 s0, s0, 0x3ff
	s_delay_alu instid0(SALU_CYCLE_1) | instskip(NEXT) | instid1(SALU_CYCLE_1)
	s_bitset1_b32 s0, 10
	s_mov_b32 m0, s0
	s_sendmsg sendmsg(MSG_INTERRUPT)
	s_mov_b32 m0, ttmp2
.LBB4_1843:                             ; =>This Inner Loop Header: Depth=1
	s_sethalt 5
	s_branch .LBB4_1843
.LBB4_1844:
	s_trap 2
	s_sendmsg_rtn_b32 s0, sendmsg(MSG_RTN_GET_DOORBELL)
	s_mov_b32 ttmp2, m0
	s_waitcnt lgkmcnt(0)
	s_and_b32 s0, s0, 0x3ff
	s_delay_alu instid0(SALU_CYCLE_1) | instskip(NEXT) | instid1(SALU_CYCLE_1)
	s_bitset1_b32 s0, 10
	s_mov_b32 m0, s0
	s_sendmsg sendmsg(MSG_INTERRUPT)
	s_mov_b32 m0, ttmp2
.LBB4_1845:                             ; =>This Inner Loop Header: Depth=1
	s_sethalt 5
	s_branch .LBB4_1845
.LBB4_1846:
	s_trap 2
	s_sendmsg_rtn_b32 s0, sendmsg(MSG_RTN_GET_DOORBELL)
	s_mov_b32 ttmp2, m0
	s_waitcnt lgkmcnt(0)
	s_and_b32 s0, s0, 0x3ff
	s_delay_alu instid0(SALU_CYCLE_1) | instskip(NEXT) | instid1(SALU_CYCLE_1)
	s_bitset1_b32 s0, 10
	s_mov_b32 m0, s0
	s_sendmsg sendmsg(MSG_INTERRUPT)
	s_mov_b32 m0, ttmp2
.LBB4_1847:                             ; =>This Inner Loop Header: Depth=1
	s_sethalt 5
	s_branch .LBB4_1847
.LBB4_1848:
	s_trap 2
	s_sendmsg_rtn_b32 s0, sendmsg(MSG_RTN_GET_DOORBELL)
	s_mov_b32 ttmp2, m0
	s_waitcnt lgkmcnt(0)
	s_and_b32 s0, s0, 0x3ff
	s_delay_alu instid0(SALU_CYCLE_1) | instskip(NEXT) | instid1(SALU_CYCLE_1)
	s_bitset1_b32 s0, 10
	s_mov_b32 m0, s0
	s_sendmsg sendmsg(MSG_INTERRUPT)
	s_mov_b32 m0, ttmp2
.LBB4_1849:                             ; =>This Inner Loop Header: Depth=1
	s_sethalt 5
	s_branch .LBB4_1849
.LBB4_1850:
	s_trap 2
	s_sendmsg_rtn_b32 s0, sendmsg(MSG_RTN_GET_DOORBELL)
	s_mov_b32 ttmp2, m0
	s_waitcnt lgkmcnt(0)
	s_and_b32 s0, s0, 0x3ff
	s_delay_alu instid0(SALU_CYCLE_1) | instskip(NEXT) | instid1(SALU_CYCLE_1)
	s_bitset1_b32 s0, 10
	s_mov_b32 m0, s0
	s_sendmsg sendmsg(MSG_INTERRUPT)
	s_mov_b32 m0, ttmp2
.LBB4_1851:                             ; =>This Inner Loop Header: Depth=1
	s_sethalt 5
	s_branch .LBB4_1851
.LBB4_1852:
	s_trap 2
	s_sendmsg_rtn_b32 s0, sendmsg(MSG_RTN_GET_DOORBELL)
	s_mov_b32 ttmp2, m0
	s_waitcnt lgkmcnt(0)
	s_and_b32 s0, s0, 0x3ff
	s_delay_alu instid0(SALU_CYCLE_1) | instskip(NEXT) | instid1(SALU_CYCLE_1)
	s_bitset1_b32 s0, 10
	s_mov_b32 m0, s0
	s_sendmsg sendmsg(MSG_INTERRUPT)
	s_mov_b32 m0, ttmp2
.LBB4_1853:                             ; =>This Inner Loop Header: Depth=1
	s_sethalt 5
	s_branch .LBB4_1853
.LBB4_1854:
	s_trap 2
	s_sendmsg_rtn_b32 s0, sendmsg(MSG_RTN_GET_DOORBELL)
	s_mov_b32 ttmp2, m0
	s_waitcnt lgkmcnt(0)
	s_and_b32 s0, s0, 0x3ff
	s_delay_alu instid0(SALU_CYCLE_1) | instskip(NEXT) | instid1(SALU_CYCLE_1)
	s_bitset1_b32 s0, 10
	s_mov_b32 m0, s0
	s_sendmsg sendmsg(MSG_INTERRUPT)
	s_mov_b32 m0, ttmp2
.LBB4_1855:                             ; =>This Inner Loop Header: Depth=1
	s_sethalt 5
	s_branch .LBB4_1855
.LBB4_1856:
	s_trap 2
	s_sendmsg_rtn_b32 s0, sendmsg(MSG_RTN_GET_DOORBELL)
	s_mov_b32 ttmp2, m0
	s_waitcnt lgkmcnt(0)
	s_and_b32 s0, s0, 0x3ff
	s_delay_alu instid0(SALU_CYCLE_1) | instskip(NEXT) | instid1(SALU_CYCLE_1)
	s_bitset1_b32 s0, 10
	s_mov_b32 m0, s0
	s_sendmsg sendmsg(MSG_INTERRUPT)
	s_mov_b32 m0, ttmp2
.LBB4_1857:                             ; =>This Inner Loop Header: Depth=1
	s_sethalt 5
	s_branch .LBB4_1857
.LBB4_1858:
	s_trap 2
	s_sendmsg_rtn_b32 s0, sendmsg(MSG_RTN_GET_DOORBELL)
	s_mov_b32 ttmp2, m0
	s_waitcnt lgkmcnt(0)
	s_and_b32 s0, s0, 0x3ff
	s_delay_alu instid0(SALU_CYCLE_1) | instskip(NEXT) | instid1(SALU_CYCLE_1)
	s_bitset1_b32 s0, 10
	s_mov_b32 m0, s0
	s_sendmsg sendmsg(MSG_INTERRUPT)
	s_mov_b32 m0, ttmp2
.LBB4_1859:                             ; =>This Inner Loop Header: Depth=1
	s_sethalt 5
	s_branch .LBB4_1859
.LBB4_1860:
	s_trap 2
	s_sendmsg_rtn_b32 s0, sendmsg(MSG_RTN_GET_DOORBELL)
	s_mov_b32 ttmp2, m0
	s_waitcnt lgkmcnt(0)
	s_and_b32 s0, s0, 0x3ff
	s_delay_alu instid0(SALU_CYCLE_1) | instskip(NEXT) | instid1(SALU_CYCLE_1)
	s_bitset1_b32 s0, 10
	s_mov_b32 m0, s0
	s_sendmsg sendmsg(MSG_INTERRUPT)
	s_mov_b32 m0, ttmp2
.LBB4_1861:                             ; =>This Inner Loop Header: Depth=1
	s_sethalt 5
	s_branch .LBB4_1861
.LBB4_1862:
	s_trap 2
	s_sendmsg_rtn_b32 s0, sendmsg(MSG_RTN_GET_DOORBELL)
	s_mov_b32 ttmp2, m0
	s_waitcnt lgkmcnt(0)
	s_and_b32 s0, s0, 0x3ff
	s_delay_alu instid0(SALU_CYCLE_1) | instskip(NEXT) | instid1(SALU_CYCLE_1)
	s_bitset1_b32 s0, 10
	s_mov_b32 m0, s0
	s_sendmsg sendmsg(MSG_INTERRUPT)
	s_mov_b32 m0, ttmp2
.LBB4_1863:                             ; =>This Inner Loop Header: Depth=1
	s_sethalt 5
	s_branch .LBB4_1863
.LBB4_1864:
	s_trap 2
	s_sendmsg_rtn_b32 s0, sendmsg(MSG_RTN_GET_DOORBELL)
	s_mov_b32 ttmp2, m0
	s_waitcnt lgkmcnt(0)
	s_and_b32 s0, s0, 0x3ff
	s_delay_alu instid0(SALU_CYCLE_1) | instskip(NEXT) | instid1(SALU_CYCLE_1)
	s_bitset1_b32 s0, 10
	s_mov_b32 m0, s0
	s_sendmsg sendmsg(MSG_INTERRUPT)
	s_mov_b32 m0, ttmp2
.LBB4_1865:                             ; =>This Inner Loop Header: Depth=1
	s_sethalt 5
	s_branch .LBB4_1865
.LBB4_1866:
	s_trap 2
	s_sendmsg_rtn_b32 s0, sendmsg(MSG_RTN_GET_DOORBELL)
	s_mov_b32 ttmp2, m0
	s_waitcnt lgkmcnt(0)
	s_and_b32 s0, s0, 0x3ff
	s_delay_alu instid0(SALU_CYCLE_1) | instskip(NEXT) | instid1(SALU_CYCLE_1)
	s_bitset1_b32 s0, 10
	s_mov_b32 m0, s0
	s_sendmsg sendmsg(MSG_INTERRUPT)
	s_mov_b32 m0, ttmp2
.LBB4_1867:                             ; =>This Inner Loop Header: Depth=1
	s_sethalt 5
	s_branch .LBB4_1867
.LBB4_1868:
	s_trap 2
	s_sendmsg_rtn_b32 s0, sendmsg(MSG_RTN_GET_DOORBELL)
	s_mov_b32 ttmp2, m0
	s_waitcnt lgkmcnt(0)
	s_and_b32 s0, s0, 0x3ff
	s_delay_alu instid0(SALU_CYCLE_1) | instskip(NEXT) | instid1(SALU_CYCLE_1)
	s_bitset1_b32 s0, 10
	s_mov_b32 m0, s0
	s_sendmsg sendmsg(MSG_INTERRUPT)
	s_mov_b32 m0, ttmp2
.LBB4_1869:                             ; =>This Inner Loop Header: Depth=1
	s_sethalt 5
	s_branch .LBB4_1869
.LBB4_1870:
	s_trap 2
	s_sendmsg_rtn_b32 s0, sendmsg(MSG_RTN_GET_DOORBELL)
	s_mov_b32 ttmp2, m0
	s_waitcnt lgkmcnt(0)
	s_and_b32 s0, s0, 0x3ff
	s_delay_alu instid0(SALU_CYCLE_1) | instskip(NEXT) | instid1(SALU_CYCLE_1)
	s_bitset1_b32 s0, 10
	s_mov_b32 m0, s0
	s_sendmsg sendmsg(MSG_INTERRUPT)
	s_mov_b32 m0, ttmp2
.LBB4_1871:                             ; =>This Inner Loop Header: Depth=1
	s_sethalt 5
	s_branch .LBB4_1871
.LBB4_1872:
	s_trap 2
	s_sendmsg_rtn_b32 s0, sendmsg(MSG_RTN_GET_DOORBELL)
	s_mov_b32 ttmp2, m0
	s_waitcnt lgkmcnt(0)
	s_and_b32 s0, s0, 0x3ff
	s_delay_alu instid0(SALU_CYCLE_1) | instskip(NEXT) | instid1(SALU_CYCLE_1)
	s_bitset1_b32 s0, 10
	s_mov_b32 m0, s0
	s_sendmsg sendmsg(MSG_INTERRUPT)
	s_mov_b32 m0, ttmp2
.LBB4_1873:                             ; =>This Inner Loop Header: Depth=1
	s_sethalt 5
	s_branch .LBB4_1873
.LBB4_1874:
	s_trap 2
	s_sendmsg_rtn_b32 s0, sendmsg(MSG_RTN_GET_DOORBELL)
	s_mov_b32 ttmp2, m0
	s_waitcnt lgkmcnt(0)
	s_and_b32 s0, s0, 0x3ff
	s_delay_alu instid0(SALU_CYCLE_1) | instskip(NEXT) | instid1(SALU_CYCLE_1)
	s_bitset1_b32 s0, 10
	s_mov_b32 m0, s0
	s_sendmsg sendmsg(MSG_INTERRUPT)
	s_mov_b32 m0, ttmp2
.LBB4_1875:                             ; =>This Inner Loop Header: Depth=1
	s_sethalt 5
	s_branch .LBB4_1875
.LBB4_1876:
	s_trap 2
	s_sendmsg_rtn_b32 s0, sendmsg(MSG_RTN_GET_DOORBELL)
	s_mov_b32 ttmp2, m0
	s_waitcnt lgkmcnt(0)
	s_and_b32 s0, s0, 0x3ff
	s_delay_alu instid0(SALU_CYCLE_1) | instskip(NEXT) | instid1(SALU_CYCLE_1)
	s_bitset1_b32 s0, 10
	s_mov_b32 m0, s0
	s_sendmsg sendmsg(MSG_INTERRUPT)
	s_mov_b32 m0, ttmp2
.LBB4_1877:                             ; =>This Inner Loop Header: Depth=1
	s_sethalt 5
	s_branch .LBB4_1877
.LBB4_1878:
	s_trap 2
	s_sendmsg_rtn_b32 s0, sendmsg(MSG_RTN_GET_DOORBELL)
	s_mov_b32 ttmp2, m0
	s_waitcnt lgkmcnt(0)
	s_and_b32 s0, s0, 0x3ff
	s_delay_alu instid0(SALU_CYCLE_1) | instskip(NEXT) | instid1(SALU_CYCLE_1)
	s_bitset1_b32 s0, 10
	s_mov_b32 m0, s0
	s_sendmsg sendmsg(MSG_INTERRUPT)
	s_mov_b32 m0, ttmp2
.LBB4_1879:                             ; =>This Inner Loop Header: Depth=1
	s_sethalt 5
	s_branch .LBB4_1879
.LBB4_1880:
	s_trap 2
	s_sendmsg_rtn_b32 s0, sendmsg(MSG_RTN_GET_DOORBELL)
	s_mov_b32 ttmp2, m0
	s_waitcnt lgkmcnt(0)
	s_and_b32 s0, s0, 0x3ff
	s_delay_alu instid0(SALU_CYCLE_1) | instskip(NEXT) | instid1(SALU_CYCLE_1)
	s_bitset1_b32 s0, 10
	s_mov_b32 m0, s0
	s_sendmsg sendmsg(MSG_INTERRUPT)
	s_mov_b32 m0, ttmp2
.LBB4_1881:                             ; =>This Inner Loop Header: Depth=1
	s_sethalt 5
	s_branch .LBB4_1881
.LBB4_1882:
	s_trap 2
	s_sendmsg_rtn_b32 s0, sendmsg(MSG_RTN_GET_DOORBELL)
	s_mov_b32 ttmp2, m0
	s_waitcnt lgkmcnt(0)
	s_and_b32 s0, s0, 0x3ff
	s_delay_alu instid0(SALU_CYCLE_1) | instskip(NEXT) | instid1(SALU_CYCLE_1)
	s_bitset1_b32 s0, 10
	s_mov_b32 m0, s0
	s_sendmsg sendmsg(MSG_INTERRUPT)
	s_mov_b32 m0, ttmp2
.LBB4_1883:                             ; =>This Inner Loop Header: Depth=1
	s_sethalt 5
	s_branch .LBB4_1883
.LBB4_1884:
	s_trap 2
	s_sendmsg_rtn_b32 s0, sendmsg(MSG_RTN_GET_DOORBELL)
	s_mov_b32 ttmp2, m0
	s_waitcnt lgkmcnt(0)
	s_and_b32 s0, s0, 0x3ff
	s_delay_alu instid0(SALU_CYCLE_1) | instskip(NEXT) | instid1(SALU_CYCLE_1)
	s_bitset1_b32 s0, 10
	s_mov_b32 m0, s0
	s_sendmsg sendmsg(MSG_INTERRUPT)
	s_mov_b32 m0, ttmp2
.LBB4_1885:                             ; =>This Inner Loop Header: Depth=1
	s_sethalt 5
	s_branch .LBB4_1885
.LBB4_1886:
	s_trap 2
	s_sendmsg_rtn_b32 s0, sendmsg(MSG_RTN_GET_DOORBELL)
	s_mov_b32 ttmp2, m0
	s_waitcnt lgkmcnt(0)
	s_and_b32 s0, s0, 0x3ff
	s_delay_alu instid0(SALU_CYCLE_1) | instskip(NEXT) | instid1(SALU_CYCLE_1)
	s_bitset1_b32 s0, 10
	s_mov_b32 m0, s0
	s_sendmsg sendmsg(MSG_INTERRUPT)
	s_mov_b32 m0, ttmp2
.LBB4_1887:                             ; =>This Inner Loop Header: Depth=1
	s_sethalt 5
	s_branch .LBB4_1887
.LBB4_1888:
	s_trap 2
	s_sendmsg_rtn_b32 s0, sendmsg(MSG_RTN_GET_DOORBELL)
	s_mov_b32 ttmp2, m0
	s_waitcnt lgkmcnt(0)
	s_and_b32 s0, s0, 0x3ff
	s_delay_alu instid0(SALU_CYCLE_1) | instskip(NEXT) | instid1(SALU_CYCLE_1)
	s_bitset1_b32 s0, 10
	s_mov_b32 m0, s0
	s_sendmsg sendmsg(MSG_INTERRUPT)
	s_mov_b32 m0, ttmp2
.LBB4_1889:                             ; =>This Inner Loop Header: Depth=1
	s_sethalt 5
	s_branch .LBB4_1889
.LBB4_1890:
	s_trap 2
	s_sendmsg_rtn_b32 s0, sendmsg(MSG_RTN_GET_DOORBELL)
	s_mov_b32 ttmp2, m0
	s_waitcnt lgkmcnt(0)
	s_and_b32 s0, s0, 0x3ff
	s_delay_alu instid0(SALU_CYCLE_1) | instskip(NEXT) | instid1(SALU_CYCLE_1)
	s_bitset1_b32 s0, 10
	s_mov_b32 m0, s0
	s_sendmsg sendmsg(MSG_INTERRUPT)
	s_mov_b32 m0, ttmp2
.LBB4_1891:                             ; =>This Inner Loop Header: Depth=1
	s_sethalt 5
	s_branch .LBB4_1891
.LBB4_1892:
	s_trap 2
	s_sendmsg_rtn_b32 s0, sendmsg(MSG_RTN_GET_DOORBELL)
	s_mov_b32 ttmp2, m0
	s_waitcnt lgkmcnt(0)
	s_and_b32 s0, s0, 0x3ff
	s_delay_alu instid0(SALU_CYCLE_1) | instskip(NEXT) | instid1(SALU_CYCLE_1)
	s_bitset1_b32 s0, 10
	s_mov_b32 m0, s0
	s_sendmsg sendmsg(MSG_INTERRUPT)
	s_mov_b32 m0, ttmp2
.LBB4_1893:                             ; =>This Inner Loop Header: Depth=1
	s_sethalt 5
	s_branch .LBB4_1893
.LBB4_1894:
	s_trap 2
	s_sendmsg_rtn_b32 s0, sendmsg(MSG_RTN_GET_DOORBELL)
	s_mov_b32 ttmp2, m0
	s_waitcnt lgkmcnt(0)
	s_and_b32 s0, s0, 0x3ff
	s_delay_alu instid0(SALU_CYCLE_1) | instskip(NEXT) | instid1(SALU_CYCLE_1)
	s_bitset1_b32 s0, 10
	s_mov_b32 m0, s0
	s_sendmsg sendmsg(MSG_INTERRUPT)
	s_mov_b32 m0, ttmp2
.LBB4_1895:                             ; =>This Inner Loop Header: Depth=1
	s_sethalt 5
	s_branch .LBB4_1895
.LBB4_1896:
	s_trap 2
	s_sendmsg_rtn_b32 s0, sendmsg(MSG_RTN_GET_DOORBELL)
	s_mov_b32 ttmp2, m0
	s_waitcnt lgkmcnt(0)
	s_and_b32 s0, s0, 0x3ff
	s_delay_alu instid0(SALU_CYCLE_1) | instskip(NEXT) | instid1(SALU_CYCLE_1)
	s_bitset1_b32 s0, 10
	s_mov_b32 m0, s0
	s_sendmsg sendmsg(MSG_INTERRUPT)
	s_mov_b32 m0, ttmp2
.LBB4_1897:                             ; =>This Inner Loop Header: Depth=1
	s_sethalt 5
	s_branch .LBB4_1897
.LBB4_1898:
	s_trap 2
	s_sendmsg_rtn_b32 s0, sendmsg(MSG_RTN_GET_DOORBELL)
	s_mov_b32 ttmp2, m0
	s_waitcnt lgkmcnt(0)
	s_and_b32 s0, s0, 0x3ff
	s_delay_alu instid0(SALU_CYCLE_1) | instskip(NEXT) | instid1(SALU_CYCLE_1)
	s_bitset1_b32 s0, 10
	s_mov_b32 m0, s0
	s_sendmsg sendmsg(MSG_INTERRUPT)
	s_mov_b32 m0, ttmp2
.LBB4_1899:                             ; =>This Inner Loop Header: Depth=1
	s_sethalt 5
	s_branch .LBB4_1899
.LBB4_1900:
	s_trap 2
	s_sendmsg_rtn_b32 s0, sendmsg(MSG_RTN_GET_DOORBELL)
	s_mov_b32 ttmp2, m0
	s_waitcnt lgkmcnt(0)
	s_and_b32 s0, s0, 0x3ff
	s_delay_alu instid0(SALU_CYCLE_1) | instskip(NEXT) | instid1(SALU_CYCLE_1)
	s_bitset1_b32 s0, 10
	s_mov_b32 m0, s0
	s_sendmsg sendmsg(MSG_INTERRUPT)
	s_mov_b32 m0, ttmp2
.LBB4_1901:                             ; =>This Inner Loop Header: Depth=1
	s_sethalt 5
	s_branch .LBB4_1901
.LBB4_1902:
	s_trap 2
	s_sendmsg_rtn_b32 s0, sendmsg(MSG_RTN_GET_DOORBELL)
	s_mov_b32 ttmp2, m0
	s_waitcnt lgkmcnt(0)
	s_and_b32 s0, s0, 0x3ff
	s_delay_alu instid0(SALU_CYCLE_1) | instskip(NEXT) | instid1(SALU_CYCLE_1)
	s_bitset1_b32 s0, 10
	s_mov_b32 m0, s0
	s_sendmsg sendmsg(MSG_INTERRUPT)
	s_mov_b32 m0, ttmp2
.LBB4_1903:                             ; =>This Inner Loop Header: Depth=1
	s_sethalt 5
	s_branch .LBB4_1903
.LBB4_1904:
	s_trap 2
	s_sendmsg_rtn_b32 s0, sendmsg(MSG_RTN_GET_DOORBELL)
	s_mov_b32 ttmp2, m0
	s_waitcnt lgkmcnt(0)
	s_and_b32 s0, s0, 0x3ff
	s_delay_alu instid0(SALU_CYCLE_1) | instskip(NEXT) | instid1(SALU_CYCLE_1)
	s_bitset1_b32 s0, 10
	s_mov_b32 m0, s0
	s_sendmsg sendmsg(MSG_INTERRUPT)
	s_mov_b32 m0, ttmp2
.LBB4_1905:                             ; =>This Inner Loop Header: Depth=1
	s_sethalt 5
	s_branch .LBB4_1905
.LBB4_1906:
	s_trap 2
	s_sendmsg_rtn_b32 s0, sendmsg(MSG_RTN_GET_DOORBELL)
	s_mov_b32 ttmp2, m0
	s_waitcnt lgkmcnt(0)
	s_and_b32 s0, s0, 0x3ff
	s_delay_alu instid0(SALU_CYCLE_1) | instskip(NEXT) | instid1(SALU_CYCLE_1)
	s_bitset1_b32 s0, 10
	s_mov_b32 m0, s0
	s_sendmsg sendmsg(MSG_INTERRUPT)
	s_mov_b32 m0, ttmp2
.LBB4_1907:                             ; =>This Inner Loop Header: Depth=1
	s_sethalt 5
	s_branch .LBB4_1907
.LBB4_1908:
	s_trap 2
	s_sendmsg_rtn_b32 s0, sendmsg(MSG_RTN_GET_DOORBELL)
	s_mov_b32 ttmp2, m0
	s_waitcnt lgkmcnt(0)
	s_and_b32 s0, s0, 0x3ff
	s_delay_alu instid0(SALU_CYCLE_1) | instskip(NEXT) | instid1(SALU_CYCLE_1)
	s_bitset1_b32 s0, 10
	s_mov_b32 m0, s0
	s_sendmsg sendmsg(MSG_INTERRUPT)
	s_mov_b32 m0, ttmp2
.LBB4_1909:                             ; =>This Inner Loop Header: Depth=1
	s_sethalt 5
	s_branch .LBB4_1909
.LBB4_1910:
	s_trap 2
	s_sendmsg_rtn_b32 s0, sendmsg(MSG_RTN_GET_DOORBELL)
	s_mov_b32 ttmp2, m0
	s_waitcnt lgkmcnt(0)
	s_and_b32 s0, s0, 0x3ff
	s_delay_alu instid0(SALU_CYCLE_1) | instskip(NEXT) | instid1(SALU_CYCLE_1)
	s_bitset1_b32 s0, 10
	s_mov_b32 m0, s0
	s_sendmsg sendmsg(MSG_INTERRUPT)
	s_mov_b32 m0, ttmp2
.LBB4_1911:                             ; =>This Inner Loop Header: Depth=1
	s_sethalt 5
	s_branch .LBB4_1911
.LBB4_1912:
	s_trap 2
	s_sendmsg_rtn_b32 s0, sendmsg(MSG_RTN_GET_DOORBELL)
	s_mov_b32 ttmp2, m0
	s_waitcnt lgkmcnt(0)
	s_and_b32 s0, s0, 0x3ff
	s_delay_alu instid0(SALU_CYCLE_1) | instskip(NEXT) | instid1(SALU_CYCLE_1)
	s_bitset1_b32 s0, 10
	s_mov_b32 m0, s0
	s_sendmsg sendmsg(MSG_INTERRUPT)
	s_mov_b32 m0, ttmp2
.LBB4_1913:                             ; =>This Inner Loop Header: Depth=1
	s_sethalt 5
	s_branch .LBB4_1913
.LBB4_1914:
	s_trap 2
	s_sendmsg_rtn_b32 s0, sendmsg(MSG_RTN_GET_DOORBELL)
	s_mov_b32 ttmp2, m0
	s_waitcnt lgkmcnt(0)
	s_and_b32 s0, s0, 0x3ff
	s_delay_alu instid0(SALU_CYCLE_1) | instskip(NEXT) | instid1(SALU_CYCLE_1)
	s_bitset1_b32 s0, 10
	s_mov_b32 m0, s0
	s_sendmsg sendmsg(MSG_INTERRUPT)
	s_mov_b32 m0, ttmp2
.LBB4_1915:                             ; =>This Inner Loop Header: Depth=1
	s_sethalt 5
	s_branch .LBB4_1915
.LBB4_1916:
	s_trap 2
	s_sendmsg_rtn_b32 s0, sendmsg(MSG_RTN_GET_DOORBELL)
	s_mov_b32 ttmp2, m0
	s_waitcnt lgkmcnt(0)
	s_and_b32 s0, s0, 0x3ff
	s_delay_alu instid0(SALU_CYCLE_1) | instskip(NEXT) | instid1(SALU_CYCLE_1)
	s_bitset1_b32 s0, 10
	s_mov_b32 m0, s0
	s_sendmsg sendmsg(MSG_INTERRUPT)
	s_mov_b32 m0, ttmp2
.LBB4_1917:                             ; =>This Inner Loop Header: Depth=1
	s_sethalt 5
	s_branch .LBB4_1917
.LBB4_1918:
	s_trap 2
	s_sendmsg_rtn_b32 s0, sendmsg(MSG_RTN_GET_DOORBELL)
	s_mov_b32 ttmp2, m0
	s_waitcnt lgkmcnt(0)
	s_and_b32 s0, s0, 0x3ff
	s_delay_alu instid0(SALU_CYCLE_1) | instskip(NEXT) | instid1(SALU_CYCLE_1)
	s_bitset1_b32 s0, 10
	s_mov_b32 m0, s0
	s_sendmsg sendmsg(MSG_INTERRUPT)
	s_mov_b32 m0, ttmp2
.LBB4_1919:                             ; =>This Inner Loop Header: Depth=1
	s_sethalt 5
	s_branch .LBB4_1919
.LBB4_1920:
	s_trap 2
	s_sendmsg_rtn_b32 s0, sendmsg(MSG_RTN_GET_DOORBELL)
	s_mov_b32 ttmp2, m0
	s_waitcnt lgkmcnt(0)
	s_and_b32 s0, s0, 0x3ff
	s_delay_alu instid0(SALU_CYCLE_1) | instskip(NEXT) | instid1(SALU_CYCLE_1)
	s_bitset1_b32 s0, 10
	s_mov_b32 m0, s0
	s_sendmsg sendmsg(MSG_INTERRUPT)
	s_mov_b32 m0, ttmp2
.LBB4_1921:                             ; =>This Inner Loop Header: Depth=1
	s_sethalt 5
	s_branch .LBB4_1921
.LBB4_1922:
	s_trap 2
	s_sendmsg_rtn_b32 s0, sendmsg(MSG_RTN_GET_DOORBELL)
	s_mov_b32 ttmp2, m0
	s_waitcnt lgkmcnt(0)
	s_and_b32 s0, s0, 0x3ff
	s_delay_alu instid0(SALU_CYCLE_1) | instskip(NEXT) | instid1(SALU_CYCLE_1)
	s_bitset1_b32 s0, 10
	s_mov_b32 m0, s0
	s_sendmsg sendmsg(MSG_INTERRUPT)
	s_mov_b32 m0, ttmp2
.LBB4_1923:                             ; =>This Inner Loop Header: Depth=1
	s_sethalt 5
	s_branch .LBB4_1923
.LBB4_1924:
	s_trap 2
	s_sendmsg_rtn_b32 s0, sendmsg(MSG_RTN_GET_DOORBELL)
	s_mov_b32 ttmp2, m0
	s_waitcnt lgkmcnt(0)
	s_and_b32 s0, s0, 0x3ff
	s_delay_alu instid0(SALU_CYCLE_1) | instskip(NEXT) | instid1(SALU_CYCLE_1)
	s_bitset1_b32 s0, 10
	s_mov_b32 m0, s0
	s_sendmsg sendmsg(MSG_INTERRUPT)
	s_mov_b32 m0, ttmp2
.LBB4_1925:                             ; =>This Inner Loop Header: Depth=1
	s_sethalt 5
	s_branch .LBB4_1925
.LBB4_1926:
	s_trap 2
	s_sendmsg_rtn_b32 s0, sendmsg(MSG_RTN_GET_DOORBELL)
	s_mov_b32 ttmp2, m0
	s_waitcnt lgkmcnt(0)
	s_and_b32 s0, s0, 0x3ff
	s_delay_alu instid0(SALU_CYCLE_1) | instskip(NEXT) | instid1(SALU_CYCLE_1)
	s_bitset1_b32 s0, 10
	s_mov_b32 m0, s0
	s_sendmsg sendmsg(MSG_INTERRUPT)
	s_mov_b32 m0, ttmp2
.LBB4_1927:                             ; =>This Inner Loop Header: Depth=1
	s_sethalt 5
	s_branch .LBB4_1927
.LBB4_1928:
	s_trap 2
	s_sendmsg_rtn_b32 s0, sendmsg(MSG_RTN_GET_DOORBELL)
	s_mov_b32 ttmp2, m0
	s_waitcnt lgkmcnt(0)
	s_and_b32 s0, s0, 0x3ff
	s_delay_alu instid0(SALU_CYCLE_1) | instskip(NEXT) | instid1(SALU_CYCLE_1)
	s_bitset1_b32 s0, 10
	s_mov_b32 m0, s0
	s_sendmsg sendmsg(MSG_INTERRUPT)
	s_mov_b32 m0, ttmp2
.LBB4_1929:                             ; =>This Inner Loop Header: Depth=1
	s_sethalt 5
	s_branch .LBB4_1929
.LBB4_1930:
	s_trap 2
	s_sendmsg_rtn_b32 s0, sendmsg(MSG_RTN_GET_DOORBELL)
	s_mov_b32 ttmp2, m0
	s_waitcnt lgkmcnt(0)
	s_and_b32 s0, s0, 0x3ff
	s_delay_alu instid0(SALU_CYCLE_1) | instskip(NEXT) | instid1(SALU_CYCLE_1)
	s_bitset1_b32 s0, 10
	s_mov_b32 m0, s0
	s_sendmsg sendmsg(MSG_INTERRUPT)
	s_mov_b32 m0, ttmp2
.LBB4_1931:                             ; =>This Inner Loop Header: Depth=1
	s_sethalt 5
	s_branch .LBB4_1931
.LBB4_1932:
	s_trap 2
	s_sendmsg_rtn_b32 s0, sendmsg(MSG_RTN_GET_DOORBELL)
	s_mov_b32 ttmp2, m0
	s_waitcnt lgkmcnt(0)
	s_and_b32 s0, s0, 0x3ff
	s_delay_alu instid0(SALU_CYCLE_1) | instskip(NEXT) | instid1(SALU_CYCLE_1)
	s_bitset1_b32 s0, 10
	s_mov_b32 m0, s0
	s_sendmsg sendmsg(MSG_INTERRUPT)
	s_mov_b32 m0, ttmp2
.LBB4_1933:                             ; =>This Inner Loop Header: Depth=1
	s_sethalt 5
	s_branch .LBB4_1933
.LBB4_1934:
	s_trap 2
	s_sendmsg_rtn_b32 s0, sendmsg(MSG_RTN_GET_DOORBELL)
	s_mov_b32 ttmp2, m0
	s_waitcnt lgkmcnt(0)
	s_and_b32 s0, s0, 0x3ff
	s_delay_alu instid0(SALU_CYCLE_1) | instskip(NEXT) | instid1(SALU_CYCLE_1)
	s_bitset1_b32 s0, 10
	s_mov_b32 m0, s0
	s_sendmsg sendmsg(MSG_INTERRUPT)
	s_mov_b32 m0, ttmp2
.LBB4_1935:                             ; =>This Inner Loop Header: Depth=1
	s_sethalt 5
	s_branch .LBB4_1935
.LBB4_1936:
	s_trap 2
	s_sendmsg_rtn_b32 s0, sendmsg(MSG_RTN_GET_DOORBELL)
	s_mov_b32 ttmp2, m0
	s_waitcnt lgkmcnt(0)
	s_and_b32 s0, s0, 0x3ff
	s_delay_alu instid0(SALU_CYCLE_1) | instskip(NEXT) | instid1(SALU_CYCLE_1)
	s_bitset1_b32 s0, 10
	s_mov_b32 m0, s0
	s_sendmsg sendmsg(MSG_INTERRUPT)
	s_mov_b32 m0, ttmp2
.LBB4_1937:                             ; =>This Inner Loop Header: Depth=1
	s_sethalt 5
	s_branch .LBB4_1937
.LBB4_1938:
	s_trap 2
	s_sendmsg_rtn_b32 s0, sendmsg(MSG_RTN_GET_DOORBELL)
	s_mov_b32 ttmp2, m0
	s_waitcnt lgkmcnt(0)
	s_and_b32 s0, s0, 0x3ff
	s_delay_alu instid0(SALU_CYCLE_1) | instskip(NEXT) | instid1(SALU_CYCLE_1)
	s_bitset1_b32 s0, 10
	s_mov_b32 m0, s0
	s_sendmsg sendmsg(MSG_INTERRUPT)
	s_mov_b32 m0, ttmp2
.LBB4_1939:                             ; =>This Inner Loop Header: Depth=1
	s_sethalt 5
	s_branch .LBB4_1939
.LBB4_1940:
	s_trap 2
	s_sendmsg_rtn_b32 s0, sendmsg(MSG_RTN_GET_DOORBELL)
	s_mov_b32 ttmp2, m0
	s_waitcnt lgkmcnt(0)
	s_and_b32 s0, s0, 0x3ff
	s_delay_alu instid0(SALU_CYCLE_1) | instskip(NEXT) | instid1(SALU_CYCLE_1)
	s_bitset1_b32 s0, 10
	s_mov_b32 m0, s0
	s_sendmsg sendmsg(MSG_INTERRUPT)
	s_mov_b32 m0, ttmp2
.LBB4_1941:                             ; =>This Inner Loop Header: Depth=1
	s_sethalt 5
	s_branch .LBB4_1941
.LBB4_1942:
	s_trap 2
	s_sendmsg_rtn_b32 s0, sendmsg(MSG_RTN_GET_DOORBELL)
	s_mov_b32 ttmp2, m0
	s_waitcnt lgkmcnt(0)
	s_and_b32 s0, s0, 0x3ff
	s_delay_alu instid0(SALU_CYCLE_1) | instskip(NEXT) | instid1(SALU_CYCLE_1)
	s_bitset1_b32 s0, 10
	s_mov_b32 m0, s0
	s_sendmsg sendmsg(MSG_INTERRUPT)
	s_mov_b32 m0, ttmp2
.LBB4_1943:                             ; =>This Inner Loop Header: Depth=1
	s_sethalt 5
	s_branch .LBB4_1943
.LBB4_1944:
	s_trap 2
	s_sendmsg_rtn_b32 s0, sendmsg(MSG_RTN_GET_DOORBELL)
	s_mov_b32 ttmp2, m0
	s_waitcnt lgkmcnt(0)
	s_and_b32 s0, s0, 0x3ff
	s_delay_alu instid0(SALU_CYCLE_1) | instskip(NEXT) | instid1(SALU_CYCLE_1)
	s_bitset1_b32 s0, 10
	s_mov_b32 m0, s0
	s_sendmsg sendmsg(MSG_INTERRUPT)
	s_mov_b32 m0, ttmp2
.LBB4_1945:                             ; =>This Inner Loop Header: Depth=1
	s_sethalt 5
	s_branch .LBB4_1945
.LBB4_1946:
	s_trap 2
	s_sendmsg_rtn_b32 s0, sendmsg(MSG_RTN_GET_DOORBELL)
	s_mov_b32 ttmp2, m0
	s_waitcnt lgkmcnt(0)
	s_and_b32 s0, s0, 0x3ff
	s_delay_alu instid0(SALU_CYCLE_1) | instskip(NEXT) | instid1(SALU_CYCLE_1)
	s_bitset1_b32 s0, 10
	s_mov_b32 m0, s0
	s_sendmsg sendmsg(MSG_INTERRUPT)
	s_mov_b32 m0, ttmp2
.LBB4_1947:                             ; =>This Inner Loop Header: Depth=1
	s_sethalt 5
	s_branch .LBB4_1947
.LBB4_1948:
	s_trap 2
	s_sendmsg_rtn_b32 s0, sendmsg(MSG_RTN_GET_DOORBELL)
	s_mov_b32 ttmp2, m0
	s_waitcnt lgkmcnt(0)
	s_and_b32 s0, s0, 0x3ff
	s_delay_alu instid0(SALU_CYCLE_1) | instskip(NEXT) | instid1(SALU_CYCLE_1)
	s_bitset1_b32 s0, 10
	s_mov_b32 m0, s0
	s_sendmsg sendmsg(MSG_INTERRUPT)
	s_mov_b32 m0, ttmp2
.LBB4_1949:                             ; =>This Inner Loop Header: Depth=1
	s_sethalt 5
	s_branch .LBB4_1949
.LBB4_1950:
	s_trap 2
	s_sendmsg_rtn_b32 s0, sendmsg(MSG_RTN_GET_DOORBELL)
	s_mov_b32 ttmp2, m0
	s_waitcnt lgkmcnt(0)
	s_and_b32 s0, s0, 0x3ff
	s_delay_alu instid0(SALU_CYCLE_1) | instskip(NEXT) | instid1(SALU_CYCLE_1)
	s_bitset1_b32 s0, 10
	s_mov_b32 m0, s0
	s_sendmsg sendmsg(MSG_INTERRUPT)
	s_mov_b32 m0, ttmp2
.LBB4_1951:                             ; =>This Inner Loop Header: Depth=1
	s_sethalt 5
	s_branch .LBB4_1951
.Lfunc_end4:
	.size	_ZN12_GLOBAL__N_17runRingId10FuncMinMaxIdE11ProtoSimpleILi2ELi2ELi0ELi2ELi0ELi0EELi0ELi0ELi2ELi0EEEviiP15ncclDevWorkColl, .Lfunc_end4-_ZN12_GLOBAL__N_17runRingId10FuncMinMaxIdE11ProtoSimpleILi2ELi2ELi0ELi2ELi0ELi0EELi0ELi0ELi2ELi0EEEviiP15ncclDevWorkColl
                                        ; -- End function
	.section	.AMDGPU.csdata,"",@progbits
; Function info:
; codeLenInByte = 57412
; NumSgprs: 44
; NumVgprs: 164
; ScratchSize: 80
; MemoryBound: 1
	.text
	.p2align	2                               ; -- Begin function _Z50ncclDevFunc_AllReduce_RING_SIMPLE_MinMax_f64_0_0_2v
	.type	_Z50ncclDevFunc_AllReduce_RING_SIMPLE_MinMax_f64_0_0_2v,@function
_Z50ncclDevFunc_AllReduce_RING_SIMPLE_MinMax_f64_0_0_2v: ; @_Z50ncclDevFunc_AllReduce_RING_SIMPLE_MinMax_f64_0_0_2v
; %bb.0:
	s_waitcnt vmcnt(0) expcnt(0) lgkmcnt(0)
	s_mov_b32 s0, s33
	s_mov_b32 s33, s32
	s_or_saveexec_b32 s1, -1
	scratch_store_b32 off, v40, s33 offset:8 ; 4-byte Folded Spill
	s_mov_b32 exec_lo, s1
	v_writelane_b32 v40, s0, 16
	s_add_i32 s32, s32, 16
	s_clause 0x1
	scratch_store_b32 off, v41, s33 offset:4
	; meta instruction
	scratch_store_b32 off, v42, s33
	v_writelane_b32 v40, s34, 0
	v_writelane_b32 v40, s35, 1
	;; [unrolled: 1-line block ×16, first 2 shown]
	s_cbranch_execnz .LBB5_7
; %bb.1:
	ds_load_b32 v0, v0
	v_and_b32_e32 v164, 0x3ff, v31
	s_mov_b32 s0, exec_lo
	s_waitcnt lgkmcnt(0)
	s_delay_alu instid0(VALU_DEP_1)
	v_cmpx_lt_i32_e64 v164, v0
	s_cbranch_execz .LBB5_9
; %bb.2:
	s_load_b32 s1, s[8:9], 0x0
	v_mov_b32_e32 v1, 0
	s_waitcnt lgkmcnt(0)
	s_cmp_lt_u32 s12, s1
	s_cselect_b32 s1, 12, 18
	s_delay_alu instid0(SALU_CYCLE_1)
	s_add_u32 s2, s8, s1
	s_addc_u32 s3, s9, 0
	s_mov_b32 s1, 0
	global_load_u16 v1, v1, s[2:3]
	s_cbranch_execnz .LBB5_24
; %bb.3:
	ds_load_b32 v2, v0
	v_mov_b32_e32 v3, v164
                                        ; implicit-def: $vgpr4
	s_waitcnt vmcnt(0) lgkmcnt(0)
	v_mul_lo_u32 v2, v2, v1
	s_branch .LBB5_5
	.p2align	6
.LBB5_4:                                ;   in Loop: Header=BB5_5 Depth=1
	s_or_b32 exec_lo, exec_lo, s2
	v_add_nc_u32_e32 v3, v3, v1
	v_add_nc_u32_e32 v4, v4, v2
	s_delay_alu instid0(VALU_DEP_2) | instskip(SKIP_1) | instid1(SALU_CYCLE_1)
	v_cmp_ge_i32_e32 vcc_lo, v3, v0
	s_or_b32 s1, vcc_lo, s1
	s_and_not1_b32 exec_lo, exec_lo, s1
	s_cbranch_execz .LBB5_9
.LBB5_5:                                ; =>This Inner Loop Header: Depth=1
	ds_load_b32 v5, v4
	s_mov_b32 s2, exec_lo
	s_waitcnt lgkmcnt(0)
	v_and_b32_e32 v5, 0x1000000, v5
	s_delay_alu instid0(VALU_DEP_1)
	v_cmpx_ne_u32_e32 0, v5
	s_cbranch_execz .LBB5_4
; %bb.6:                                ;   in Loop: Header=BB5_5 Depth=1
	ds_load_b64 v[5:6], v4 offset:104
	s_waitcnt lgkmcnt(0)
	flat_load_b64 v[5:6], v[5:6]
	s_waitcnt vmcnt(0) lgkmcnt(0)
	ds_store_b64 v4, v[5:6] offset:104
	s_branch .LBB5_4
.LBB5_7:
	s_trap 2
	s_sendmsg_rtn_b32 s0, sendmsg(MSG_RTN_GET_DOORBELL)
	s_mov_b32 ttmp2, m0
	s_waitcnt lgkmcnt(0)
	s_and_b32 s0, s0, 0x3ff
	s_delay_alu instid0(SALU_CYCLE_1) | instskip(NEXT) | instid1(SALU_CYCLE_1)
	s_bitset1_b32 s0, 10
	s_mov_b32 m0, s0
	s_sendmsg sendmsg(MSG_INTERRUPT)
	s_mov_b32 m0, ttmp2
.LBB5_8:                                ; =>This Inner Loop Header: Depth=1
	s_sethalt 5
	s_branch .LBB5_8
.LBB5_9:
	s_or_b32 exec_lo, exec_lo, s0
	s_waitcnt lgkmcnt(0)
	s_waitcnt_vscnt null, 0x0
	s_barrier
	buffer_gl0_inv
	s_cbranch_execnz .LBB5_22
; %bb.10:
	ds_load_b32 v0, v0
	s_waitcnt lgkmcnt(0)
	v_cmp_gt_i32_e32 vcc_lo, 1, v0
	s_cbranch_vccnz .LBB5_21
; %bb.11:
	s_mov_b32 s46, 0
	s_mov_b64 s[44:45], src_shared_base
.LBB5_12:                               ; =>This Inner Loop Header: Depth=1
	s_cbranch_execnz .LBB5_26
; %bb.13:                               ;   in Loop: Header=BB5_12 Depth=1
	ds_load_b32 v0, v0
	s_cmp_eq_u32 s46, 0
	s_cbranch_scc1 .LBB5_17
; %bb.14:                               ;   in Loop: Header=BB5_12 Depth=1
	s_cbranch_execnz .LBB5_30
; %bb.15:                               ;   in Loop: Header=BB5_12 Depth=1
	s_waitcnt lgkmcnt(0)
	ds_load_b32 v1, v0
	s_waitcnt lgkmcnt(0)
	v_xor_b32_e32 v1, v1, v0
	s_delay_alu instid0(VALU_DEP_1) | instskip(NEXT) | instid1(VALU_DEP_1)
	v_and_b32_e32 v1, 0xff0000, v1
	v_cmp_eq_u32_e32 vcc_lo, 0, v1
	s_cbranch_vccnz .LBB5_17
; %bb.16:                               ;   in Loop: Header=BB5_12 Depth=1
	s_waitcnt_vscnt null, 0x0
	s_barrier
	buffer_gl0_inv
	ds_load_b32 v0, v0
.LBB5_17:                               ;   in Loop: Header=BB5_12 Depth=1
	s_waitcnt lgkmcnt(0)
	v_lshrrev_b32_e32 v0, 11, v0
	s_mov_b32 s47, exec_lo
	s_delay_alu instid0(VALU_DEP_1) | instskip(NEXT) | instid1(VALU_DEP_1)
	v_and_b32_e32 v1, 0x1fe0, v0
	v_cmpx_lt_u32_e64 v164, v1
	s_cbranch_execz .LBB5_19
; %bb.18:                               ;   in Loop: Header=BB5_12 Depth=1
	v_dual_mov_b32 v165, v31 :: v_dual_mov_b32 v0, v164
	v_mov_b32_e32 v3, s45
	s_getpc_b64 s[0:1]
	s_add_u32 s0, s0, _ZN12_GLOBAL__N_17runRingId10FuncMinMaxIdE11ProtoSimpleILi2ELi2ELi0ELi2ELi0ELi0EELi0ELi0ELi2ELi0EEEviiP15ncclDevWorkColl@rel32@lo+4
	s_addc_u32 s1, s1, _ZN12_GLOBAL__N_17runRingId10FuncMinMaxIdE11ProtoSimpleILi2ELi2ELi0ELi2ELi0ELi0EELi0ELi0ELi2ELi0EEEviiP15ncclDevWorkColl@rel32@hi+12
	s_mov_b64 s[42:43], s[8:9]
	s_mov_b32 s44, s12
	s_swappc_b64 s[30:31], s[0:1]
	v_mov_b32_e32 v31, v165
	s_mov_b32 s12, s44
	s_mov_b64 s[8:9], s[42:43]
.LBB5_19:                               ;   in Loop: Header=BB5_12 Depth=1
	s_or_b32 exec_lo, exec_lo, s47
	s_cbranch_execnz .LBB5_28
; %bb.20:                               ;   in Loop: Header=BB5_12 Depth=1
	ds_load_b32 v0, v0
	s_add_i32 s46, s46, 1
	s_waitcnt lgkmcnt(0)
	v_cmp_lt_i32_e32 vcc_lo, s46, v0
	s_cbranch_vccnz .LBB5_12
.LBB5_21:
	s_clause 0x1
	scratch_load_b32 v42, off, s33
	scratch_load_b32 v41, off, s33 offset:4
	v_readlane_b32 s30, v40, 14
	v_readlane_b32 s31, v40, 15
	;; [unrolled: 1-line block ×17, first 2 shown]
	s_or_saveexec_b32 s1, -1
	scratch_load_b32 v40, off, s33 offset:8 ; 4-byte Folded Reload
	s_mov_b32 exec_lo, s1
	s_add_i32 s32, s32, -16
	s_mov_b32 s33, s0
	s_waitcnt vmcnt(0)
	s_setpc_b64 s[30:31]
.LBB5_22:
	s_trap 2
	s_sendmsg_rtn_b32 s0, sendmsg(MSG_RTN_GET_DOORBELL)
	s_mov_b32 ttmp2, m0
	s_waitcnt lgkmcnt(0)
	s_and_b32 s0, s0, 0x3ff
	s_delay_alu instid0(SALU_CYCLE_1) | instskip(NEXT) | instid1(SALU_CYCLE_1)
	s_bitset1_b32 s0, 10
	s_mov_b32 m0, s0
	s_sendmsg sendmsg(MSG_INTERRUPT)
	s_mov_b32 m0, ttmp2
.LBB5_23:                               ; =>This Inner Loop Header: Depth=1
	s_sethalt 5
	s_branch .LBB5_23
.LBB5_24:
	s_trap 2
	s_sendmsg_rtn_b32 s0, sendmsg(MSG_RTN_GET_DOORBELL)
	s_mov_b32 ttmp2, m0
	s_waitcnt lgkmcnt(0)
	s_and_b32 s0, s0, 0x3ff
	s_delay_alu instid0(SALU_CYCLE_1) | instskip(NEXT) | instid1(SALU_CYCLE_1)
	s_bitset1_b32 s0, 10
	s_mov_b32 m0, s0
	s_sendmsg sendmsg(MSG_INTERRUPT)
	s_mov_b32 m0, ttmp2
.LBB5_25:                               ; =>This Inner Loop Header: Depth=1
	s_sethalt 5
	s_branch .LBB5_25
.LBB5_26:
	s_trap 2
	s_sendmsg_rtn_b32 s0, sendmsg(MSG_RTN_GET_DOORBELL)
	s_mov_b32 ttmp2, m0
	s_waitcnt lgkmcnt(0)
	s_and_b32 s0, s0, 0x3ff
	s_delay_alu instid0(SALU_CYCLE_1) | instskip(NEXT) | instid1(SALU_CYCLE_1)
	s_bitset1_b32 s0, 10
	s_mov_b32 m0, s0
	s_sendmsg sendmsg(MSG_INTERRUPT)
	s_mov_b32 m0, ttmp2
.LBB5_27:                               ; =>This Inner Loop Header: Depth=1
	s_sethalt 5
	s_branch .LBB5_27
.LBB5_28:
	s_trap 2
	s_sendmsg_rtn_b32 s0, sendmsg(MSG_RTN_GET_DOORBELL)
	s_mov_b32 ttmp2, m0
	s_waitcnt lgkmcnt(0)
	s_and_b32 s0, s0, 0x3ff
	s_delay_alu instid0(SALU_CYCLE_1) | instskip(NEXT) | instid1(SALU_CYCLE_1)
	s_bitset1_b32 s0, 10
	s_mov_b32 m0, s0
	s_sendmsg sendmsg(MSG_INTERRUPT)
	s_mov_b32 m0, ttmp2
.LBB5_29:                               ; =>This Inner Loop Header: Depth=1
	s_sethalt 5
	s_branch .LBB5_29
.LBB5_30:
	s_trap 2
	s_sendmsg_rtn_b32 s0, sendmsg(MSG_RTN_GET_DOORBELL)
	s_mov_b32 ttmp2, m0
	s_waitcnt lgkmcnt(0)
	s_and_b32 s0, s0, 0x3ff
	s_delay_alu instid0(SALU_CYCLE_1) | instskip(NEXT) | instid1(SALU_CYCLE_1)
	s_bitset1_b32 s0, 10
	s_mov_b32 m0, s0
	s_sendmsg sendmsg(MSG_INTERRUPT)
	s_mov_b32 m0, ttmp2
.LBB5_31:                               ; =>This Inner Loop Header: Depth=1
	s_sethalt 5
	s_branch .LBB5_31
.Lfunc_end5:
	.size	_Z50ncclDevFunc_AllReduce_RING_SIMPLE_MinMax_f64_0_0_2v, .Lfunc_end5-_Z50ncclDevFunc_AllReduce_RING_SIMPLE_MinMax_f64_0_0_2v
                                        ; -- End function
	.section	.AMDGPU.csdata,"",@progbits
; Function info:
; codeLenInByte = 1184
; NumSgprs: 50
; NumVgprs: 166
; ScratchSize: 96
; MemoryBound: 0
	.text
	.p2align	2                               ; -- Begin function _ZN12_GLOBAL__N_17runRingId10FuncMinMaxIdE11ProtoSimpleILi2ELi2ELi0ELi4ELi0ELi0EELi0ELi0ELi4ELi0EEEviiP15ncclDevWorkColl
	.type	_ZN12_GLOBAL__N_17runRingId10FuncMinMaxIdE11ProtoSimpleILi2ELi2ELi0ELi4ELi0ELi0EELi0ELi0ELi4ELi0EEEviiP15ncclDevWorkColl,@function
_ZN12_GLOBAL__N_17runRingId10FuncMinMaxIdE11ProtoSimpleILi2ELi2ELi0ELi4ELi0ELi0EELi0ELi0ELi4ELi0EEEviiP15ncclDevWorkColl: ; @_ZN12_GLOBAL__N_17runRingId10FuncMinMaxIdE11ProtoSimpleILi2ELi2ELi0ELi4ELi0ELi0EELi0ELi0ELi4ELi0EEEviiP15ncclDevWorkColl
; %bb.0:
	s_waitcnt vmcnt(0) expcnt(0) lgkmcnt(0)
	s_mov_b32 s0, s33
	s_mov_b32 s33, s32
	s_or_saveexec_b32 s1, -1
	s_clause 0x1
	scratch_store_b32 off, v46, s33 offset:24
	; meta instruction
	scratch_store_b32 off, v47, s33 offset:28
	s_mov_b32 exec_lo, s1
	v_writelane_b32 v46, s0, 11
	s_add_i32 s32, s32, 48
	s_clause 0x5
	scratch_store_b32 off, v40, s33 offset:20
	; meta instruction
	scratch_store_b32 off, v41, s33 offset:16
	; meta instruction
	;; [unrolled: 2-line block ×5, first 2 shown]
	scratch_store_b32 off, v45, s33
	v_writelane_b32 v46, s34, 0
	v_writelane_b32 v46, s35, 1
	;; [unrolled: 1-line block ×11, first 2 shown]
	s_cbranch_execnz .LBB6_1412
; %bb.1:
	flat_load_b32 v7, v[2:3]
	ds_load_b32 v6, v0
	s_mov_b32 s0, exec_lo
                                        ; implicit-def: $vgpr32_vgpr33
                                        ; implicit-def: $vgpr14_vgpr15
                                        ; implicit-def: $vgpr4_vgpr5
	s_waitcnt lgkmcnt(0)
	v_readfirstlane_b32 s19, v6
	s_waitcnt vmcnt(0)
	v_and_b32_e32 v8, 0xff, v7
	s_delay_alu instid0(VALU_DEP_1)
	v_cmpx_ne_u32_e64 v8, v6
	s_xor_b32 s0, exec_lo, s0
	s_cbranch_execnz .LBB6_1414
; %bb.2:
	s_and_not1_saveexec_b32 s0, s0
	s_cbranch_execnz .LBB6_1419
.LBB6_3:
	s_or_b32 exec_lo, exec_lo, s0
	s_cbranch_execnz .LBB6_1420
.LBB6_4:
	ds_load_b64 v[6:7], v0
	s_mov_b32 s1, exec_lo
	s_waitcnt lgkmcnt(0)
	v_cmp_ne_u32_e32 vcc_lo, -1, v6
	v_cndmask_b32_e64 v35, 0, 1, vcc_lo
	v_cmp_ne_u32_e32 vcc_lo, -1, v7
	s_delay_alu instid0(VALU_DEP_2) | instskip(NEXT) | instid1(VALU_DEP_1)
	v_add_co_ci_u32_e64 v8, s0, 0, v35, vcc_lo
	v_lshlrev_b32_e32 v6, 1, v8
	s_delay_alu instid0(VALU_DEP_1)
	v_cmpx_le_i32_e64 v6, v1
	s_xor_b32 s18, exec_lo, s1
	s_cbranch_execz .LBB6_1665
; %bb.5:
	s_clause 0x3
	flat_load_b64 v[33:34], v[2:3] offset:104
	flat_load_b128 v[10:13], v[2:3] offset:16
	flat_load_u16 v7, v[2:3] offset:8
	flat_load_b32 v6, v[2:3] offset:4
	s_cbranch_execnz .LBB6_1422
; %bb.6:
	s_load_b32 s0, s[8:9], 0x0
	v_dual_mov_b32 v9, 0 :: v_dual_mov_b32 v30, 4
	s_waitcnt lgkmcnt(0)
	s_cmp_lt_u32 s12, s0
	s_cselect_b32 s0, 12, 18
	s_delay_alu instid0(SALU_CYCLE_1)
	s_add_u32 s0, s8, s0
	s_addc_u32 s1, s9, 0
	global_load_u16 v36, v9, s[0:1]
	ds_load_b32 v9, v0
	s_mov_b32 s1, exec_lo
	s_waitcnt lgkmcnt(0)
	v_readfirstlane_b32 s5, v9
	v_cmpx_ge_i32_e64 v0, v35
	s_cbranch_execz .LBB6_16
; %bb.7:
	v_cmp_le_u32_e64 s0, v8, v0
                                        ; implicit-def: $vgpr30
	s_delay_alu instid0(VALU_DEP_1) | instskip(NEXT) | instid1(SALU_CYCLE_1)
	s_and_saveexec_b32 s2, s0
	s_xor_b32 s0, exec_lo, s2
	s_cbranch_execz .LBB6_13
; %bb.8:
	v_cndmask_b32_e64 v9, 0, 1, vcc_lo
	s_mov_b32 s2, exec_lo
                                        ; implicit-def: $sgpr3
	s_delay_alu instid0(VALU_DEP_1) | instskip(NEXT) | instid1(VALU_DEP_1)
	v_sub_nc_u32_e32 v9, v1, v9
	v_cmpx_ge_u32_e64 v0, v9
	s_xor_b32 s2, exec_lo, s2
; %bb.9:
	s_mov_b32 s3, 16
                                        ; implicit-def: $vgpr8
; %bb.10:
	s_or_saveexec_b32 s2, s2
	v_mov_b32_e32 v30, s3
	s_xor_b32 exec_lo, exec_lo, s2
; %bb.11:
	v_sub_nc_u32_e32 v8, v1, v8
	s_delay_alu instid0(VALU_DEP_1) | instskip(SKIP_1) | instid1(VALU_DEP_1)
	v_cmp_ge_i32_e32 vcc_lo, v0, v8
	v_cndmask_b32_e64 v8, 0, 1, vcc_lo
	v_lshlrev_b32_e32 v30, 5, v8
; %bb.12:
	s_or_b32 exec_lo, exec_lo, s2
.LBB6_13:
	s_and_not1_saveexec_b32 s0, s0
; %bb.14:
	v_mov_b32_e32 v30, 8
; %bb.15:
	s_or_b32 exec_lo, exec_lo, s0
.LBB6_16:
	s_delay_alu instid0(SALU_CYCLE_1) | instskip(NEXT) | instid1(VALU_DEP_1)
	s_or_b32 exec_lo, exec_lo, s1
	v_and_b32_e32 v8, 36, v30
	s_delay_alu instid0(VALU_DEP_1)
	v_cmp_ne_u32_e32 vcc_lo, 0, v8
	v_mov_b32_e32 v8, -1
	s_and_saveexec_b32 s0, vcc_lo
	s_cbranch_execz .LBB6_19
; %bb.17:
	s_cbranch_execnz .LBB6_1424
; %bb.18:
	ds_load_b32 v8, v0
.LBB6_19:
	s_or_b32 exec_lo, exec_lo, s0
	v_and_b32_e32 v9, 24, v30
	s_mov_b32 s1, exec_lo
	s_delay_alu instid0(VALU_DEP_1)
	v_cmpx_ne_u32_e32 0, v9
	s_cbranch_execz .LBB6_22
; %bb.20:
	s_cbranch_execnz .LBB6_1426
; %bb.21:
	s_waitcnt lgkmcnt(0)
	ds_load_b32 v8, v0
.LBB6_22:
	s_or_b32 exec_lo, exec_lo, s1
	s_waitcnt vmcnt(1)
	v_lshrrev_b64 v[6:7], 31, v[6:7]
	v_mov_b32_e32 v18, 0
	v_mov_b32_e32 v19, 0
                                        ; implicit-def: $vgpr16_vgpr17
                                        ; implicit-def: $vgpr81
                                        ; implicit-def: $vgpr22_vgpr23
                                        ; implicit-def: $vgpr24_vgpr25
                                        ; implicit-def: $vgpr28_vgpr29
                                        ; implicit-def: $vgpr20_vgpr21
	s_delay_alu instid0(VALU_DEP_2) | instskip(NEXT) | instid1(VALU_DEP_2)
	v_dual_mov_b32 v6, v18 :: v_dual_and_b32 v37, 3, v6
	v_mov_b32_e32 v7, v19
	s_and_saveexec_b32 s0, vcc_lo
	s_cbranch_execz .LBB6_35
; %bb.23:
	s_cbranch_execnz .LBB6_1428
; %bb.24:
	ds_load_b64 v[6:7], v0
	s_waitcnt lgkmcnt(1)
	v_ashrrev_i32_e32 v9, 31, v8
	s_mov_b32 s1, exec_lo
	s_delay_alu instid0(VALU_DEP_1) | instskip(SKIP_2) | instid1(VALU_DEP_2)
	v_lshlrev_b64 v[16:17], 3, v[8:9]
	v_and_b32_e32 v9, 0xffff, v37
	s_waitcnt lgkmcnt(0)
	v_add_co_u32 v6, vcc_lo, v6, v16
	s_delay_alu instid0(VALU_DEP_3)
	v_add_co_ci_u32_e32 v7, vcc_lo, v7, v17, vcc_lo
	flat_load_b64 v[6:7], v[6:7]
	s_waitcnt vmcnt(0) lgkmcnt(0)
	v_mad_u64_u32 v[16:17], null, 0xa8, v9, v[6:7]
	flat_load_b32 v6, v[16:17] offset:640
	v_add_co_u32 v18, vcc_lo, 0x1f8, v16
	v_add_co_ci_u32_e32 v19, vcc_lo, 0, v17, vcc_lo
                                        ; implicit-def: $vgpr16_vgpr17
	s_waitcnt vmcnt(0) lgkmcnt(0)
	v_cmpx_eq_u32_e32 1, v6
	s_cbranch_execz .LBB6_27
; %bb.25:
	flat_load_b64 v[16:17], v[18:19] offset:144
	s_waitcnt vmcnt(0) lgkmcnt(0)
	flat_load_b64 v[6:7], v[16:17]
	s_cbranch_execnz .LBB6_1436
; %bb.26:
	s_waitcnt vmcnt(0) lgkmcnt(0)
	ds_store_b64 v0, v[6:7]
	flat_load_b64 v[6:7], v[16:17] offset:8
	v_or_b32_e32 v30, 0x2000, v30
	s_waitcnt vmcnt(0) lgkmcnt(0)
	ds_store_b64 v0, v[6:7]
	flat_load_b64 v[6:7], v[16:17] offset:16
	s_waitcnt vmcnt(0) lgkmcnt(0)
	ds_store_b64 v0, v[6:7]
.LBB6_27:
	s_or_b32 exec_lo, exec_lo, s1
	flat_load_b64 v[6:7], v[18:19] offset:104
	v_and_b32_e32 v9, 32, v30
	s_mov_b32 s1, exec_lo
                                        ; implicit-def: $vgpr20_vgpr21
	s_waitcnt vmcnt(0) lgkmcnt(0)
	v_add_co_u32 v6, vcc_lo, v6, 3
	v_add_co_ci_u32_e32 v23, vcc_lo, 0, v7, vcc_lo
	s_delay_alu instid0(VALU_DEP_2)
	v_and_b32_e32 v22, -4, v6
	v_cmpx_ne_u32_e32 0, v9
	s_cbranch_execz .LBB6_29
; %bb.28:
	flat_load_b64 v[20:21], v[18:19] offset:56
	s_waitcnt vmcnt(0) lgkmcnt(0)
	s_waitcnt_vscnt null, 0x0
	flat_store_b64 v[20:21], v[22:23]
.LBB6_29:
	s_or_b32 exec_lo, exec_lo, s1
	v_dual_mov_b32 v6, 0 :: v_dual_and_b32 v9, 4, v30
	v_mov_b32_e32 v7, 0
	s_mov_b32 s1, exec_lo
                                        ; implicit-def: $vgpr81
                                        ; implicit-def: $vgpr24_vgpr25
                                        ; implicit-def: $vgpr28_vgpr29
	s_delay_alu instid0(VALU_DEP_2)
	v_cmpx_ne_u32_e32 0, v9
	s_cbranch_execz .LBB6_34
; %bb.30:
	v_and_b32_e32 v6, 0x800, v30
	s_mov_b32 s2, exec_lo
	s_delay_alu instid0(VALU_DEP_1)
	v_cmpx_eq_u32_e32 0, v6
	s_cbranch_execz .LBB6_33
; %bb.31:
	s_cbranch_execnz .LBB6_1438
; %bb.32:
	ds_store_b64 v0, v[18:19]
.LBB6_33:
	s_or_b32 exec_lo, exec_lo, s2
	flat_load_b64 v[20:21], v[18:19] offset:48
	v_or_b32_e32 v26, 0x100, v30
	s_waitcnt vmcnt(0) lgkmcnt(0)
	flat_load_b64 v[28:29], v[20:21] glc
	s_clause 0x2
	flat_load_b32 v9, v[18:19] offset:72
	flat_load_b64 v[6:7], v[18:19] offset:96
	flat_load_b64 v[24:25], v[18:19] offset:16
	s_waitcnt vmcnt(2) lgkmcnt(2)
	v_ashrrev_i32_e32 v81, 3, v9
	s_waitcnt vmcnt(1) lgkmcnt(1)
	v_cmp_eq_u64_e32 vcc_lo, 0, v[6:7]
	v_cndmask_b32_e32 v30, v26, v30, vcc_lo
.LBB6_34:
	s_or_b32 exec_lo, exec_lo, s1
.LBB6_35:
	s_delay_alu instid0(SALU_CYCLE_1) | instskip(NEXT) | instid1(VALU_DEP_1)
	s_or_b32 exec_lo, exec_lo, s0
	v_and_b32_e32 v9, 24, v30
	s_mov_b32 s0, exec_lo
                                        ; implicit-def: $vgpr26_vgpr27
	s_delay_alu instid0(VALU_DEP_1)
	v_cmpx_ne_u32_e32 0, v9
	s_cbranch_execz .LBB6_45
; %bb.36:
	s_cbranch_execnz .LBB6_1430
; %bb.37:
	ds_load_b64 v[6:7], v0
	s_waitcnt lgkmcnt(1)
	v_ashrrev_i32_e32 v9, 31, v8
	v_or_b32_e32 v22, 0x100, v30
	s_mov_b32 s1, exec_lo
                                        ; implicit-def: $vgpr26_vgpr27
	s_delay_alu instid0(VALU_DEP_2) | instskip(SKIP_1) | instid1(VALU_DEP_1)
	v_lshlrev_b64 v[8:9], 3, v[8:9]
	s_waitcnt lgkmcnt(0)
	v_add_co_u32 v6, vcc_lo, v6, v8
	s_delay_alu instid0(VALU_DEP_2)
	v_add_co_ci_u32_e32 v7, vcc_lo, v7, v9, vcc_lo
	v_and_b32_e32 v8, 0xffff, v37
	flat_load_b64 v[6:7], v[6:7]
	s_waitcnt vmcnt(0) lgkmcnt(0)
	v_mad_u64_u32 v[18:19], null, 0xa8, v8, v[6:7]
	flat_load_b128 v[6:9], v[18:19] offset:96
	s_waitcnt vmcnt(0) lgkmcnt(0)
	v_cmp_eq_u64_e32 vcc_lo, 0, v[6:7]
	v_cndmask_b32_e32 v30, v22, v30, vcc_lo
	s_delay_alu instid0(VALU_DEP_1) | instskip(NEXT) | instid1(VALU_DEP_1)
	v_and_b32_e32 v22, 16, v30
	v_cmpx_ne_u32_e32 0, v22
; %bb.38:
	s_clause 0x2
	flat_load_b64 v[26:27], v[18:19] offset:120
	flat_load_b64 v[20:21], v[18:19] offset:48
	;; [unrolled: 1-line block ×3, first 2 shown]
; %bb.39:
	s_or_b32 exec_lo, exec_lo, s1
	v_and_b32_e32 v22, 8, v30
	s_mov_b32 s1, exec_lo
	s_delay_alu instid0(VALU_DEP_1)
	v_cmpx_ne_u32_e32 0, v22
	s_cbranch_execz .LBB6_44
; %bb.40:
	s_waitcnt vmcnt(1) lgkmcnt(1)
	v_and_b32_e32 v20, 0x800, v30
	s_mov_b32 s2, exec_lo
	s_delay_alu instid0(VALU_DEP_1)
	v_cmpx_eq_u32_e32 0, v20
	s_cbranch_execz .LBB6_43
; %bb.41:
	s_cbranch_execnz .LBB6_1440
; %bb.42:
	ds_store_b64 v0, v[18:19]
.LBB6_43:
	s_or_b32 exec_lo, exec_lo, s2
	flat_load_b64 v[20:21], v[18:19] offset:56
	s_waitcnt vmcnt(0) lgkmcnt(0)
	flat_load_b64 v[28:29], v[20:21] glc
	s_clause 0x1
	flat_load_b32 v22, v[18:19] offset:72
	flat_load_b64 v[24:25], v[18:19] offset:16
	s_waitcnt vmcnt(1) lgkmcnt(1)
	v_ashrrev_i32_e32 v81, 3, v22
.LBB6_44:
	s_or_b32 exec_lo, exec_lo, s1
	v_add_co_u32 v8, vcc_lo, v8, 3
	v_add_co_ci_u32_e32 v23, vcc_lo, 0, v9, vcc_lo
	s_delay_alu instid0(VALU_DEP_2)
	v_and_b32_e32 v22, -4, v8
.LBB6_45:
	s_or_b32 exec_lo, exec_lo, s0
	v_cmp_eq_u32_e64 s0, 0, v0
	s_delay_alu instid0(VALU_DEP_1)
	s_and_saveexec_b32 s1, s0
	s_cbranch_execz .LBB6_48
; %bb.46:
	s_waitcnt lgkmcnt(0)
	flat_load_b64 v[8:9], v[2:3] offset:32
	ds_store_2addr_b64 v0, v[12:13], v[10:11] offset1:1
	s_cbranch_execnz .LBB6_1432
; %bb.47:
	s_waitcnt vmcnt(0) lgkmcnt(1)
	ds_store_b64 v0, v[8:9]
	ds_store_b64 v0, v[33:34]
.LBB6_48:
	s_or_b32 exec_lo, exec_lo, s1
	v_mov_b32_e32 v12, 0
	s_waitcnt vmcnt(0)
	v_dual_mov_b32 v13, 0 :: v_dual_and_b32 v80, 0xffff, v36
	s_mov_b32 s2, exec_lo
	v_cmpx_lt_i64_e32 0, v[4:5]
	s_cbranch_execz .LBB6_1406
; %bb.49:
	s_waitcnt lgkmcnt(0)
	flat_load_b32 v8, v[2:3] offset:4
	v_dual_mov_b32 v3, 0 :: v_dual_and_b32 v2, 31, v31
	s_ashr_i32 s21, s19, 31
	s_add_u32 s22, s19, -1
	s_addc_u32 s23, s21, -1
	s_not_b32 s3, s19
	v_cmp_ge_i32_e32 vcc_lo, v0, v1
	v_cmp_eq_u32_e64 s1, 0, v2
	s_cmp_gt_i32 s19, 0
	s_cselect_b32 s6, s3, -1
	s_cbranch_execnz .LBB6_1434
; %bb.50:
	v_ashrrev_i32_e32 v9, 31, v0
	v_and_b32_e32 v2, 0x7ffffc0, v32
	v_lshrrev_b32_e32 v83, 5, v1
	s_ashr_i32 s7, s5, 31
	s_waitcnt vmcnt(0) lgkmcnt(0)
	v_and_b32_e32 v8, 1, v8
	v_lshrrev_b32_e32 v9, 27, v9
	s_lshr_b32 s7, s7, 29
	v_lshlrev_b32_e32 v101, 8, v83
	s_add_i32 s5, s5, s7
	s_add_i32 s24, s19, s19
	v_add_nc_u32_e32 v9, v0, v9
	s_ashr_i32 s5, s5, 6
	s_add_i32 s26, s6, s24
	s_lshr_b32 s6, s5, 28
	s_ashr_i32 s27, s26, 31
	v_and_b32_e32 v10, 0xffffffe0, v9
	s_add_i32 s5, s5, s6
                                        ; implicit-def: $vgpr47 : SGPR spill to VGPR lane
	v_cmp_eq_u64_e64 s10, 0, v[26:27]
	s_ashr_i32 s25, s5, 4
	s_cmp_gt_i32 s19, 2
	v_sub_nc_u32_e32 v85, v0, v10
	v_lshl_add_u32 v10, v83, 12, 0xfffff000
	s_cselect_b32 s29, -1, 0
	s_add_i32 s13, s19, 1
	v_writelane_b32 v47, s2, 0
	v_cmp_lt_i32_e64 s36, v85, v35
	v_cmp_le_i32_e64 s12, v85, v35
	v_mov_b32_e32 v34, 0
	v_ashrrev_i32_e32 v84, 5, v9
	v_mov_b32_e32 v35, 0
	v_mov_b32_e32 v37, v3
	v_dual_mov_b32 v36, v2 :: v_dual_lshlrev_b32 v87, 9, v83
	s_delay_alu instid0(VALU_DEP_4) | instskip(SKIP_1) | instid1(VALU_DEP_3)
	v_dual_mov_b32 v130, 1 :: v_dual_lshlrev_b32 v9, 12, v84
	v_add_co_u32 v98, s7, 0x1000, v10
	v_dual_mov_b32 v12, v34 :: v_dual_add_nc_u32 v97, 0xfffffe00, v87
	s_delay_alu instid0(VALU_DEP_3) | instskip(SKIP_2) | instid1(VALU_DEP_4)
	v_lshl_add_u32 v86, v85, 4, v9
	v_ashrrev_i32_e32 v9, 31, v10
	v_dual_mov_b32 v13, v35 :: v_dual_add_nc_u32 v112, 0xffffff00, v101
	v_ashrrev_i32_e32 v100, 31, v97
	v_mad_i64_i32 v[32:33], null, v2, s19, 0
	s_delay_alu instid0(VALU_DEP_4) | instskip(SKIP_2) | instid1(VALU_DEP_1)
	v_add_co_ci_u32_e64 v99, s7, 0, v9, s7
	v_lshl_add_u32 v9, v83, 10, 0xfffffc00
	v_add_co_u32 v102, s7, 0x200, v97
	v_add_co_ci_u32_e64 v103, s7, 0, v100, s7
	s_delay_alu instid0(VALU_DEP_3) | instskip(SKIP_3) | instid1(VALU_DEP_3)
	v_ashrrev_i32_e32 v10, 31, v9
	v_add_co_u32 v113, s7, 0x400, v9
	v_ashrrev_i32_e32 v115, 31, v112
	s_mov_b32 s2, 0
	v_add_co_ci_u32_e64 v114, s7, 0, v10, s7
	v_add_co_u32 v116, s7, 0x100, v112
	s_delay_alu instid0(VALU_DEP_1)
	v_add_co_ci_u32_e64 v117, s7, 0, v115, s7
	v_cmp_eq_u32_e64 s7, 1, v8
	v_lshlrev_b32_e32 v8, 11, v84
	v_cmp_ne_u64_e64 s11, 0, v[26:27]
	v_writelane_b32 v47, s2, 1
	v_ashrrev_i32_e32 v82, 31, v81
	s_xor_b32 s6, s7, -1
	v_sub_nc_u32_e32 v118, v86, v8
	v_lshl_add_u32 v8, v83, 11, 0xfffff800
	s_cmp_le_i32 s19, s13
	v_cmp_eq_u32_e64 s2, 32, v1
	s_cselect_b32 s14, s19, 0
	v_cmp_ne_u32_e64 s3, 32, v1
	v_ashrrev_i32_e32 v9, 31, v8
	s_sub_i32 s14, s13, s14
	v_add_co_u32 v128, s13, 0x800, v8
	v_cmp_ne_u32_e64 s4, v80, v1
	v_cmp_gt_i32_e64 s5, 1, v85
	v_ashrrev_i32_e32 v96, 31, v86
	v_ashrrev_i32_e32 v119, 31, v118
	v_add_co_ci_u32_e64 v129, s13, 0, v9, s13
	s_ashr_i32 s35, s14, 31
	s_add_i32 s31, s19, -2
	s_xor_b32 s34, vcc_lo, -1
	s_sub_i32 s13, 0, s19
	v_writelane_b32 v47, s6, 2
.LBB6_51:                               ; =>This Loop Header: Depth=1
                                        ;     Child Loop BB6_59 Depth 2
                                        ;       Child Loop BB6_68 Depth 3
                                        ;       Child Loop BB6_97 Depth 3
	;; [unrolled: 1-line block ×9, first 2 shown]
                                        ;     Child Loop BB6_225 Depth 2
                                        ;       Child Loop BB6_231 Depth 3
                                        ;       Child Loop BB6_260 Depth 3
	;; [unrolled: 1-line block ×3, first 2 shown]
                                        ;     Child Loop BB6_308 Depth 2
                                        ;       Child Loop BB6_310 Depth 3
                                        ;         Child Loop BB6_319 Depth 4
                                        ;         Child Loop BB6_351 Depth 4
	;; [unrolled: 1-line block ×9, first 2 shown]
                                        ;       Child Loop BB6_483 Depth 3
                                        ;         Child Loop BB6_489 Depth 4
                                        ;         Child Loop BB6_519 Depth 4
	;; [unrolled: 1-line block ×3, first 2 shown]
                                        ;     Child Loop BB6_569 Depth 2
                                        ;       Child Loop BB6_578 Depth 3
                                        ;       Child Loop BB6_608 Depth 3
	;; [unrolled: 1-line block ×5, first 2 shown]
                                        ;         Child Loop BB6_666 Depth 4
                                        ;       Child Loop BB6_678 Depth 3
                                        ;       Child Loop BB6_684 Depth 3
                                        ;         Child Loop BB6_685 Depth 4
                                        ;       Child Loop BB6_701 Depth 3
                                        ;       Child Loop BB6_707 Depth 3
                                        ;       Child Loop BB6_718 Depth 3
                                        ;       Child Loop BB6_724 Depth 3
                                        ;       Child Loop BB6_736 Depth 3
                                        ;       Child Loop BB6_762 Depth 3
                                        ;     Child Loop BB6_783 Depth 2
                                        ;       Child Loop BB6_789 Depth 3
                                        ;       Child Loop BB6_821 Depth 3
	;; [unrolled: 1-line block ×3, first 2 shown]
                                        ;     Child Loop BB6_869 Depth 2
                                        ;       Child Loop BB6_871 Depth 3
                                        ;         Child Loop BB6_880 Depth 4
                                        ;         Child Loop BB6_912 Depth 4
	;; [unrolled: 1-line block ×5, first 2 shown]
                                        ;           Child Loop BB6_967 Depth 5
                                        ;         Child Loop BB6_978 Depth 4
                                        ;         Child Loop BB6_984 Depth 4
                                        ;           Child Loop BB6_985 Depth 5
                                        ;         Child Loop BB6_999 Depth 4
                                        ;         Child Loop BB6_1005 Depth 4
	;; [unrolled: 1-line block ×6, first 2 shown]
                                        ;       Child Loop BB6_1080 Depth 3
                                        ;         Child Loop BB6_1086 Depth 4
                                        ;         Child Loop BB6_1116 Depth 4
	;; [unrolled: 1-line block ×3, first 2 shown]
                                        ;     Child Loop BB6_1165 Depth 2
                                        ;       Child Loop BB6_1174 Depth 3
                                        ;       Child Loop BB6_1201 Depth 3
	;; [unrolled: 1-line block ×9, first 2 shown]
                                        ;     Child Loop BB6_1327 Depth 2
                                        ;       Child Loop BB6_1333 Depth 3
                                        ;       Child Loop BB6_1360 Depth 3
	;; [unrolled: 1-line block ×3, first 2 shown]
	v_sub_co_u32 v38, vcc_lo, v4, v34
	v_sub_co_ci_u32_e32 v39, vcc_lo, v5, v35, vcc_lo
	s_mov_b32 s30, exec_lo
	s_delay_alu instid0(VALU_DEP_1)
	v_cmpx_lt_i64_e64 v[38:39], v[32:33]
	s_cbranch_execz .LBB6_57
; %bb.52:                               ;   in Loop: Header=BB6_51 Depth=1
	v_add_co_u32 v2, vcc_lo, s22, v38
	v_add_co_ci_u32_e32 v10, vcc_lo, s23, v39, vcc_lo
	v_mov_b32_e32 v8, v3
	s_delay_alu instid0(VALU_DEP_2) | instskip(NEXT) | instid1(VALU_DEP_1)
	v_or_b32_e32 v9, s21, v10
	v_cmp_ne_u64_e32 vcc_lo, 0, v[8:9]
                                        ; implicit-def: $vgpr8_vgpr9
	s_and_saveexec_b32 s15, vcc_lo
	s_delay_alu instid0(SALU_CYCLE_1)
	s_xor_b32 vcc_hi, exec_lo, s15
	s_cbranch_execz .LBB6_54
; %bb.53:                               ;   in Loop: Header=BB6_51 Depth=1
	s_add_u32 s16, s19, s21
	s_mov_b32 s28, s24
	s_mov_b32 s24, s27
	s_mov_b32 s27, s3
	s_mov_b32 s3, s4
	s_mov_b32 s4, s29
	s_mov_b32 s29, s2
	s_mov_b32 s2, s11
	s_mov_b32 s11, s14
	s_mov_b32 s14, s21
	s_mov_b32 s15, s21
	s_addc_u32 s17, s21, s21
	s_mov_b32 s20, s13
	s_xor_b64 s[16:17], s[16:17], s[14:15]
	s_delay_alu instid0(SALU_CYCLE_1) | instskip(SKIP_3) | instid1(VALU_DEP_1)
	v_cvt_f32_u32_e32 v8, s16
	v_cvt_f32_u32_e32 v9, s17
	s_sub_u32 s13, 0, s16
	s_subb_u32 s37, 0, s17
	v_fmac_f32_e32 v8, 0x4f800000, v9
	s_delay_alu instid0(VALU_DEP_1) | instskip(SKIP_2) | instid1(VALU_DEP_1)
	v_rcp_f32_e32 v8, v8
	s_waitcnt_depctr 0xfff
	v_mul_f32_e32 v8, 0x5f7ffffc, v8
	v_mul_f32_e32 v9, 0x2f800000, v8
	s_delay_alu instid0(VALU_DEP_1) | instskip(NEXT) | instid1(VALU_DEP_1)
	v_trunc_f32_e32 v9, v9
	v_fmac_f32_e32 v8, 0xcf800000, v9
	v_cvt_u32_f32_e32 v9, v9
	s_delay_alu instid0(VALU_DEP_2) | instskip(NEXT) | instid1(VALU_DEP_2)
	v_cvt_u32_f32_e32 v8, v8
	v_mul_lo_u32 v11, s13, v9
	s_delay_alu instid0(VALU_DEP_2) | instskip(SKIP_1) | instid1(VALU_DEP_2)
	v_mul_hi_u32 v36, s13, v8
	v_mul_lo_u32 v37, s37, v8
	v_add_nc_u32_e32 v11, v36, v11
	v_mul_lo_u32 v36, s13, v8
	s_delay_alu instid0(VALU_DEP_2) | instskip(NEXT) | instid1(VALU_DEP_2)
	v_add_nc_u32_e32 v11, v11, v37
	v_mul_hi_u32 v37, v8, v36
	s_delay_alu instid0(VALU_DEP_2)
	v_mul_lo_u32 v48, v8, v11
	v_mul_hi_u32 v49, v8, v11
	v_mul_hi_u32 v50, v9, v36
	v_mul_lo_u32 v36, v9, v36
	v_mul_hi_u32 v51, v9, v11
	v_mul_lo_u32 v11, v9, v11
	v_add_co_u32 v37, vcc_lo, v37, v48
	v_add_co_ci_u32_e32 v48, vcc_lo, 0, v49, vcc_lo
	s_delay_alu instid0(VALU_DEP_2) | instskip(NEXT) | instid1(VALU_DEP_2)
	v_add_co_u32 v36, vcc_lo, v37, v36
	v_add_co_ci_u32_e32 v36, vcc_lo, v48, v50, vcc_lo
	v_add_co_ci_u32_e32 v37, vcc_lo, 0, v51, vcc_lo
	v_ashrrev_i32_e32 v50, 31, v10
	s_delay_alu instid0(VALU_DEP_3) | instskip(NEXT) | instid1(VALU_DEP_3)
	v_add_co_u32 v11, vcc_lo, v36, v11
	v_add_co_ci_u32_e32 v36, vcc_lo, 0, v37, vcc_lo
	s_delay_alu instid0(VALU_DEP_2) | instskip(NEXT) | instid1(VALU_DEP_2)
	v_add_co_u32 v8, vcc_lo, v8, v11
	v_add_co_ci_u32_e32 v9, vcc_lo, v9, v36, vcc_lo
	s_delay_alu instid0(VALU_DEP_2) | instskip(SKIP_1) | instid1(VALU_DEP_3)
	v_mul_hi_u32 v11, s13, v8
	v_mul_lo_u32 v37, s37, v8
	v_mul_lo_u32 v36, s13, v9
	s_delay_alu instid0(VALU_DEP_1) | instskip(SKIP_1) | instid1(VALU_DEP_2)
	v_add_nc_u32_e32 v11, v11, v36
	v_mul_lo_u32 v36, s13, v8
	v_add_nc_u32_e32 v11, v11, v37
	s_delay_alu instid0(VALU_DEP_2) | instskip(NEXT) | instid1(VALU_DEP_2)
	v_mul_hi_u32 v37, v8, v36
	v_mul_lo_u32 v48, v8, v11
	v_mul_hi_u32 v49, v8, v11
	v_mul_hi_u32 v51, v9, v36
	v_mul_lo_u32 v36, v9, v36
	v_mul_hi_u32 v52, v9, v11
	v_mul_lo_u32 v11, v9, v11
	v_add_co_u32 v37, vcc_lo, v37, v48
	v_add_co_ci_u32_e32 v48, vcc_lo, 0, v49, vcc_lo
	s_delay_alu instid0(VALU_DEP_2) | instskip(NEXT) | instid1(VALU_DEP_2)
	v_add_co_u32 v36, vcc_lo, v37, v36
	v_add_co_ci_u32_e32 v36, vcc_lo, v48, v51, vcc_lo
	v_add_co_ci_u32_e32 v37, vcc_lo, 0, v52, vcc_lo
	v_add_co_u32 v2, vcc_lo, v2, v50
	v_add_co_ci_u32_e32 v10, vcc_lo, v10, v50, vcc_lo
	s_delay_alu instid0(VALU_DEP_4) | instskip(NEXT) | instid1(VALU_DEP_4)
	v_add_co_u32 v11, vcc_lo, v36, v11
	v_add_co_ci_u32_e32 v36, vcc_lo, 0, v37, vcc_lo
	s_delay_alu instid0(VALU_DEP_4) | instskip(NEXT) | instid1(VALU_DEP_3)
	v_xor_b32_e32 v2, v2, v50
	v_add_co_u32 v37, vcc_lo, v8, v11
	s_delay_alu instid0(VALU_DEP_3) | instskip(SKIP_1) | instid1(VALU_DEP_3)
	v_add_co_ci_u32_e32 v48, vcc_lo, v9, v36, vcc_lo
	v_xor_b32_e32 v49, v10, v50
	v_mul_hi_u32 v51, v2, v37
	s_delay_alu instid0(VALU_DEP_3) | instskip(NEXT) | instid1(VALU_DEP_3)
	v_mad_u64_u32 v[8:9], null, v2, v48, 0
	v_mad_u64_u32 v[10:11], null, v49, v37, 0
	v_mad_u64_u32 v[36:37], null, v49, v48, 0
	s_delay_alu instid0(VALU_DEP_3) | instskip(NEXT) | instid1(VALU_DEP_4)
	v_add_co_u32 v8, vcc_lo, v51, v8
	v_add_co_ci_u32_e32 v9, vcc_lo, 0, v9, vcc_lo
	s_delay_alu instid0(VALU_DEP_2) | instskip(NEXT) | instid1(VALU_DEP_2)
	v_add_co_u32 v8, vcc_lo, v8, v10
	v_add_co_ci_u32_e32 v8, vcc_lo, v9, v11, vcc_lo
	v_add_co_ci_u32_e32 v9, vcc_lo, 0, v37, vcc_lo
	s_delay_alu instid0(VALU_DEP_2) | instskip(NEXT) | instid1(VALU_DEP_2)
	v_add_co_u32 v10, vcc_lo, v8, v36
	v_add_co_ci_u32_e32 v11, vcc_lo, 0, v9, vcc_lo
	s_delay_alu instid0(VALU_DEP_2) | instskip(SKIP_1) | instid1(VALU_DEP_3)
	v_mul_lo_u32 v36, s17, v10
	v_mad_u64_u32 v[8:9], null, s16, v10, 0
	v_mul_lo_u32 v37, s16, v11
	s_delay_alu instid0(VALU_DEP_2) | instskip(NEXT) | instid1(VALU_DEP_2)
	v_sub_co_u32 v2, vcc_lo, v2, v8
	v_add3_u32 v9, v9, v37, v36
	s_delay_alu instid0(VALU_DEP_1) | instskip(NEXT) | instid1(VALU_DEP_1)
	v_sub_nc_u32_e32 v36, v49, v9
	v_subrev_co_ci_u32_e64 v8, s13, s17, v36, vcc_lo
	v_add_co_u32 v36, s13, v10, 2
	s_delay_alu instid0(VALU_DEP_1) | instskip(SKIP_3) | instid1(VALU_DEP_3)
	v_add_co_ci_u32_e64 v37, s13, 0, v11, s13
	v_sub_co_u32 v48, s13, v2, s16
	v_sub_co_ci_u32_e32 v9, vcc_lo, v49, v9, vcc_lo
	v_subrev_co_ci_u32_e64 v8, s13, 0, v8, s13
	v_cmp_le_u32_e32 vcc_lo, s16, v48
	s_delay_alu instid0(VALU_DEP_3) | instskip(SKIP_1) | instid1(VALU_DEP_4)
	v_cmp_eq_u32_e64 s13, s17, v9
	v_cndmask_b32_e64 v48, 0, -1, vcc_lo
	v_cmp_le_u32_e32 vcc_lo, s17, v8
	v_cndmask_b32_e64 v49, 0, -1, vcc_lo
	v_cmp_le_u32_e32 vcc_lo, s16, v2
	;; [unrolled: 2-line block ×3, first 2 shown]
	v_cndmask_b32_e64 v51, 0, -1, vcc_lo
	v_cmp_eq_u32_e32 vcc_lo, s17, v8
	s_delay_alu instid0(VALU_DEP_2) | instskip(SKIP_3) | instid1(VALU_DEP_3)
	v_cndmask_b32_e64 v2, v51, v2, s13
	v_cndmask_b32_e32 v8, v49, v48, vcc_lo
	v_add_co_u32 v48, vcc_lo, v10, 1
	v_add_co_ci_u32_e32 v49, vcc_lo, 0, v11, vcc_lo
	v_cmp_ne_u32_e32 vcc_lo, 0, v8
	s_mov_b32 s13, s20
	s_delay_alu instid0(VALU_DEP_2)
	v_dual_cndmask_b32 v8, v49, v37 :: v_dual_cndmask_b32 v9, v48, v36
	v_cmp_ne_u32_e32 vcc_lo, 0, v2
	v_xor_b32_e32 v2, s14, v50
	s_mov_b32 s14, s11
	s_mov_b32 s11, s2
	;; [unrolled: 1-line block ×3, first 2 shown]
	v_dual_cndmask_b32 v8, v11, v8 :: v_dual_cndmask_b32 v9, v10, v9
	v_xor_b32_e32 v10, s15, v50
	s_mov_b32 s29, s4
	s_mov_b32 s4, s3
	s_mov_b32 s3, s27
	v_xor_b32_e32 v9, v9, v2
	v_xor_b32_e32 v11, v8, v10
	s_mov_b32 s27, s24
	s_mov_b32 s24, s28
	s_delay_alu instid0(VALU_DEP_2) | instskip(NEXT) | instid1(VALU_DEP_2)
	v_sub_co_u32 v8, vcc_lo, v9, v2
	v_sub_co_ci_u32_e32 v9, vcc_lo, v11, v10, vcc_lo
                                        ; implicit-def: $vgpr2
.LBB6_54:                               ;   in Loop: Header=BB6_51 Depth=1
	s_and_not1_saveexec_b32 s15, vcc_hi
	s_cbranch_execz .LBB6_56
; %bb.55:                               ;   in Loop: Header=BB6_51 Depth=1
	v_cvt_f32_u32_e32 v8, s19
	s_delay_alu instid0(VALU_DEP_1) | instskip(SKIP_2) | instid1(VALU_DEP_1)
	v_rcp_iflag_f32_e32 v8, v8
	s_waitcnt_depctr 0xfff
	v_mul_f32_e32 v8, 0x4f7ffffe, v8
	v_cvt_u32_f32_e32 v8, v8
	s_delay_alu instid0(VALU_DEP_1) | instskip(NEXT) | instid1(VALU_DEP_1)
	v_mul_lo_u32 v9, s13, v8
	v_mul_hi_u32 v9, v8, v9
	s_delay_alu instid0(VALU_DEP_1) | instskip(NEXT) | instid1(VALU_DEP_1)
	v_add_nc_u32_e32 v8, v8, v9
	v_mul_hi_u32 v8, v2, v8
	s_delay_alu instid0(VALU_DEP_1) | instskip(NEXT) | instid1(VALU_DEP_1)
	v_mul_lo_u32 v9, v8, s19
	v_sub_nc_u32_e32 v2, v2, v9
	s_delay_alu instid0(VALU_DEP_1) | instskip(SKIP_1) | instid1(VALU_DEP_2)
	v_subrev_nc_u32_e32 v10, s19, v2
	v_cmp_le_u32_e32 vcc_lo, s19, v2
	v_dual_cndmask_b32 v2, v2, v10 :: v_dual_add_nc_u32 v9, 1, v8
	s_delay_alu instid0(VALU_DEP_1) | instskip(NEXT) | instid1(VALU_DEP_2)
	v_cndmask_b32_e32 v8, v8, v9, vcc_lo
	v_cmp_le_u32_e32 vcc_lo, s19, v2
	s_delay_alu instid0(VALU_DEP_2) | instskip(NEXT) | instid1(VALU_DEP_1)
	v_add_nc_u32_e32 v9, 1, v8
	v_cndmask_b32_e32 v2, v8, v9, vcc_lo
	s_delay_alu instid0(VALU_DEP_1)
	v_dual_mov_b32 v9, v3 :: v_dual_mov_b32 v8, v2
.LBB6_56:                               ;   in Loop: Header=BB6_51 Depth=1
	s_or_b32 exec_lo, exec_lo, s15
	s_delay_alu instid0(VALU_DEP_1) | instskip(NEXT) | instid1(VALU_DEP_2)
	v_add_co_u32 v2, vcc_lo, v8, 1
	v_add_co_ci_u32_e32 v37, vcc_lo, 0, v9, vcc_lo
	s_delay_alu instid0(VALU_DEP_2)
	v_and_b32_e32 v36, -2, v2
.LBB6_57:                               ;   in Loop: Header=BB6_51 Depth=1
	s_or_b32 exec_lo, exec_lo, s30
	s_delay_alu instid0(VALU_DEP_2) | instskip(NEXT) | instid1(VALU_DEP_2)
	v_mul_lo_u32 v2, v37, s26
	v_mul_lo_u32 v8, v36, s27
	v_mad_u64_u32 v[50:51], null, v36, s26, 0
	s_mov_b32 vcc_hi, s36
	v_mov_b32_e32 v10, 0
	s_mov_b32 s16, 0
	s_delay_alu instid0(VALU_DEP_2) | instskip(NEXT) | instid1(VALU_DEP_3)
	v_add3_u32 v51, v51, v8, v2
	v_sub_co_u32 v8, vcc_lo, v38, v50
	s_delay_alu instid0(VALU_DEP_2) | instskip(NEXT) | instid1(VALU_DEP_1)
	v_sub_co_ci_u32_e32 v9, vcc_lo, v39, v51, vcc_lo
	v_cmp_lt_i64_e32 vcc_lo, v[36:37], v[8:9]
	v_cndmask_b32_e32 v8, v8, v36, vcc_lo
	v_add_co_u32 v48, vcc_lo, v34, v14
	v_add_co_ci_u32_e32 v49, vcc_lo, v35, v15, vcc_lo
	s_delay_alu instid0(VALU_DEP_3) | instskip(NEXT) | instid1(VALU_DEP_1)
	v_max_i32_e32 v66, 0, v8
	v_add_nc_u32_e32 v2, 31, v66
	s_delay_alu instid0(VALU_DEP_1) | instskip(NEXT) | instid1(VALU_DEP_1)
	v_lshrrev_b32_e32 v2, 1, v2
	v_and_b32_e32 v9, 0x3ffffff0, v2
	v_cmp_lt_i32_e32 vcc_lo, 0, v8
	v_mov_b32_e32 v2, 0
	s_delay_alu instid0(VALU_DEP_3) | instskip(SKIP_1) | instid1(SALU_CYCLE_1)
	v_max_i32_e32 v8, s25, v9
	s_and_b32 s6, s34, vcc_lo
	s_and_saveexec_b32 s15, s6
	s_cbranch_execz .LBB6_223
; %bb.58:                               ;   in Loop: Header=BB6_51 Depth=1
	v_lshlrev_b64 v[50:51], 3, v[50:51]
	v_mov_b32_e32 v10, 0
	s_mov_b32 s30, 1
	s_mov_b32 s17, -1
.LBB6_59:                               ;   Parent Loop BB6_51 Depth=1
                                        ; =>  This Loop Header: Depth=2
                                        ;       Child Loop BB6_68 Depth 3
                                        ;       Child Loop BB6_97 Depth 3
	;; [unrolled: 1-line block ×9, first 2 shown]
	s_and_saveexec_b32 s6, s0
	s_cbranch_execz .LBB6_62
; %bb.60:                               ;   in Loop: Header=BB6_59 Depth=2
	s_cbranch_execnz .LBB6_1457
; %bb.61:                               ;   in Loop: Header=BB6_59 Depth=2
	ds_load_b64 v[52:53], v0
	v_lshlrev_b64 v[54:55], 3, v[48:49]
	v_ashrrev_i32_e32 v11, 31, v10
	s_waitcnt lgkmcnt(0)
	s_delay_alu instid0(VALU_DEP_2) | instskip(NEXT) | instid1(VALU_DEP_3)
	v_add_co_u32 v2, vcc_lo, v52, v54
	v_add_co_ci_u32_e32 v9, vcc_lo, v53, v55, vcc_lo
	s_delay_alu instid0(VALU_DEP_3) | instskip(NEXT) | instid1(VALU_DEP_3)
	v_lshlrev_b64 v[52:53], 3, v[10:11]
	v_add_co_u32 v2, vcc_lo, v2, v50
	s_delay_alu instid0(VALU_DEP_3) | instskip(NEXT) | instid1(VALU_DEP_2)
	v_add_co_ci_u32_e32 v9, vcc_lo, v9, v51, vcc_lo
	v_add_co_u32 v52, vcc_lo, v2, v52
	s_delay_alu instid0(VALU_DEP_2)
	v_add_co_ci_u32_e32 v53, vcc_lo, v9, v53, vcc_lo
	v_mov_b32_e32 v2, v3
	ds_store_b64 v0, v[52:53]
	ds_store_b64 v0, v[2:3]
.LBB6_62:                               ;   in Loop: Header=BB6_59 Depth=2
	s_or_b32 exec_lo, exec_lo, s6
	v_and_b32_e32 v2, 8, v30
	s_mov_b32 s20, -1
	s_mov_b32 s6, exec_lo
	s_delay_alu instid0(VALU_DEP_1)
	v_cmpx_ne_u32_e32 0, v2
	s_cbranch_execz .LBB6_76
; %bb.63:                               ;   in Loop: Header=BB6_59 Depth=2
	v_add_co_u32 v54, vcc_lo, v28, 8
	v_add_co_ci_u32_e32 v55, vcc_lo, 0, v29, vcc_lo
	v_add_co_u32 v52, vcc_lo, v22, 2
	v_add_co_ci_u32_e32 v53, vcc_lo, 0, v23, vcc_lo
	v_mov_b32_e32 v2, 1
	s_mov_b32 s20, exec_lo
	s_delay_alu instid0(VALU_DEP_2)
	v_cmpx_lt_u64_e64 v[54:55], v[52:53]
	s_cbranch_execz .LBB6_75
; %bb.64:                               ;   in Loop: Header=BB6_59 Depth=2
	v_mov_b32_e32 v2, 0
	s_mov_b32 s28, 0
                                        ; implicit-def: $sgpr36
	s_branch .LBB6_68
.LBB6_65:                               ;   in Loop: Header=BB6_68 Depth=3
	s_or_b32 exec_lo, exec_lo, s40
	v_mov_b32_e32 v9, 0
	s_or_not1_b32 s39, s39, exec_lo
.LBB6_66:                               ;   in Loop: Header=BB6_68 Depth=3
	s_or_b32 exec_lo, exec_lo, s38
	s_delay_alu instid0(VALU_DEP_1) | instskip(SKIP_2) | instid1(SALU_CYCLE_1)
	v_mov_b32_e32 v2, v9
	s_and_not1_b32 vcc_lo, s36, exec_lo
	s_and_b32 s36, s39, exec_lo
	s_or_b32 s36, vcc_lo, s36
.LBB6_67:                               ;   in Loop: Header=BB6_68 Depth=3
	s_or_b32 exec_lo, exec_lo, s37
	s_waitcnt vmcnt(0) lgkmcnt(0)
	v_add_co_u32 v54, vcc_lo, v28, 8
	v_add_co_ci_u32_e32 v55, vcc_lo, 0, v29, vcc_lo
	s_xor_b32 s37, s36, -1
	s_delay_alu instid0(VALU_DEP_1) | instskip(SKIP_1) | instid1(SALU_CYCLE_1)
	v_cmp_ge_u64_e32 vcc_lo, v[54:55], v[52:53]
	s_or_b32 vcc_lo, s37, vcc_lo
	s_and_b32 vcc_lo, exec_lo, vcc_lo
	s_delay_alu instid0(SALU_CYCLE_1) | instskip(NEXT) | instid1(SALU_CYCLE_1)
	s_or_b32 s28, vcc_lo, s28
	s_and_not1_b32 exec_lo, exec_lo, s28
	s_cbranch_execz .LBB6_74
.LBB6_68:                               ;   Parent Loop BB6_51 Depth=1
                                        ;     Parent Loop BB6_59 Depth=2
                                        ; =>    This Inner Loop Header: Depth=3
	s_sleep 1
	flat_load_b64 v[28:29], v[20:21] glc
	v_and_b32_e32 v9, 64, v30
	s_and_not1_b32 s36, s36, exec_lo
	s_mov_b32 s37, exec_lo
	s_delay_alu instid0(VALU_DEP_1)
	v_cmpx_eq_u32_e32 0, v9
	s_cbranch_execz .LBB6_67
; %bb.69:                               ;   in Loop: Header=BB6_68 Depth=3
	v_add_nc_u32_e32 v9, 1, v2
	s_mov_b32 s39, -1
	s_mov_b32 s38, exec_lo
	v_cmpx_lt_i32_e32 0x270e, v2
	s_cbranch_execz .LBB6_66
; %bb.70:                               ;   in Loop: Header=BB6_68 Depth=3
	s_cbranch_execnz .LBB6_1479
; %bb.71:                               ;   in Loop: Header=BB6_68 Depth=3
	ds_load_b64 v[54:55], v0
	s_mov_b32 s40, exec_lo
	s_waitcnt vmcnt(0) lgkmcnt(0)
	s_waitcnt_vscnt null, 0x0
	flat_load_b32 v2, v[54:55] glc
	s_waitcnt vmcnt(0) lgkmcnt(0)
	buffer_gl1_inv
	buffer_gl0_inv
	v_cmpx_ne_u32_e32 0, v2
	s_cbranch_execz .LBB6_65
; %bb.72:                               ;   in Loop: Header=BB6_68 Depth=3
	ds_store_b32 v0, v2
	s_cbranch_execnz .LBB6_1498
; %bb.73:                               ;   in Loop: Header=BB6_68 Depth=3
	v_or_b32_e32 v30, 64, v30
	s_xor_b32 s39, exec_lo, -1
	s_branch .LBB6_65
.LBB6_74:                               ;   in Loop: Header=BB6_59 Depth=2
	s_or_b32 exec_lo, exec_lo, s28
	v_and_b32_e32 v2, 8, v30
.LBB6_75:                               ;   in Loop: Header=BB6_59 Depth=2
	s_or_b32 exec_lo, exec_lo, s20
	s_delay_alu instid0(VALU_DEP_1)
	v_cmp_eq_u32_e32 vcc_lo, 0, v2
	;;#ASMSTART
	s_wakeup
	;;#ASMEND
	s_or_not1_b32 s20, vcc_lo, exec_lo
.LBB6_76:                               ;   in Loop: Header=BB6_59 Depth=2
	s_or_b32 exec_lo, exec_lo, s6
	v_sub_nc_u32_e32 v2, v66, v10
	s_xor_b32 s20, s20, -1
	s_delay_alu instid0(VALU_DEP_1)
	v_min_i32_e32 v8, v8, v2
	s_and_saveexec_b32 s6, s20
	s_cbranch_execz .LBB6_84
; %bb.77:                               ;   in Loop: Header=BB6_59 Depth=2
	v_and_b32_e32 v2, 0x100, v30
	v_and_b32_e32 v52, 7, v22
	s_mov_b32 s28, 0
	s_mov_b32 s20, exec_lo
                                        ; implicit-def: $vgpr54_vgpr55
	s_delay_alu instid0(VALU_DEP_2)
	v_cmpx_ne_u32_e32 0, v2
	s_xor_b32 s20, exec_lo, s20
	s_cbranch_execnz .LBB6_92
; %bb.78:                               ;   in Loop: Header=BB6_59 Depth=2
	s_and_not1_saveexec_b32 s20, s20
	s_cbranch_execnz .LBB6_95
.LBB6_79:                               ;   in Loop: Header=BB6_59 Depth=2
	s_or_b32 exec_lo, exec_lo, s20
	s_and_saveexec_b32 s20, s28
.LBB6_80:                               ;   in Loop: Header=BB6_59 Depth=2
	v_mul_lo_u32 v2, v3, v81
	v_mul_lo_u32 v9, v52, v82
	v_mad_u64_u32 v[54:55], null, v52, v81, 0
	s_delay_alu instid0(VALU_DEP_1)
	v_add3_u32 v55, v55, v9, v2
.LBB6_81:                               ;   in Loop: Header=BB6_59 Depth=2
	s_or_b32 exec_lo, exec_lo, s20
	s_delay_alu instid0(VALU_DEP_1) | instskip(SKIP_2) | instid1(VALU_DEP_2)
	v_lshlrev_b64 v[52:53], 3, v[54:55]
	v_and_b32_e32 v2, 0x2000, v30
	s_mov_b32 s20, exec_lo
	v_add_co_u32 v52, vcc_lo, v24, v52
	s_delay_alu instid0(VALU_DEP_3)
	v_add_co_ci_u32_e32 v53, vcc_lo, v25, v53, vcc_lo
	ds_store_b64 v0, v[52:53] offset:784
	v_cmpx_ne_u32_e32 0, v2
	s_cbranch_execz .LBB6_83
; %bb.82:                               ;   in Loop: Header=BB6_59 Depth=2
	ds_load_b64 v[52:53], v0 offset:584
	s_waitcnt lgkmcnt(0)
	v_add_co_u32 v52, vcc_lo, v52, 1
	v_add_co_ci_u32_e32 v53, vcc_lo, 0, v53, vcc_lo
	ds_store_b64 v0, v[52:53] offset:584
.LBB6_83:                               ;   in Loop: Header=BB6_59 Depth=2
	s_or_b32 exec_lo, exec_lo, s20
	v_add_co_u32 v22, vcc_lo, v22, 2
	v_add_co_ci_u32_e32 v23, vcc_lo, 0, v23, vcc_lo
.LBB6_84:                               ;   in Loop: Header=BB6_59 Depth=2
	s_or_b32 exec_lo, exec_lo, s6
	s_and_saveexec_b32 s6, s3
	s_cbranch_execz .LBB6_110
; %bb.85:                               ;   in Loop: Header=BB6_59 Depth=2
	s_and_saveexec_b32 s20, s4
	s_delay_alu instid0(SALU_CYCLE_1)
	s_xor_b32 s20, exec_lo, s20
	s_cbranch_execz .LBB6_107
; %bb.86:                               ;   in Loop: Header=BB6_59 Depth=2
	s_and_saveexec_b32 s28, s1
	s_cbranch_execz .LBB6_106
; %bb.87:                               ;   in Loop: Header=BB6_59 Depth=2
	s_mov_b32 s37, exec_lo
	s_mov_b32 s36, exec_lo
	v_mbcnt_lo_u32_b32 v2, s37, 0
	s_waitcnt lgkmcnt(0)
	s_waitcnt_vscnt null, 0x0
	buffer_gl1_inv
	buffer_gl0_inv
	v_cmpx_eq_u32_e32 0, v2
	s_cbranch_execz .LBB6_89
; %bb.88:                               ;   in Loop: Header=BB6_59 Depth=2
	s_bcnt1_i32_b32 vcc_lo, s37
	s_delay_alu instid0(SALU_CYCLE_1)
	v_mov_b32_e32 v2, vcc_lo
	ds_add_u64 v0, v[2:3]
	s_cbranch_execnz .LBB6_1524
.LBB6_89:                               ;   in Loop: Header=BB6_59 Depth=2
	s_or_b32 exec_lo, exec_lo, s36
	s_cbranch_execnz .LBB6_1504
; %bb.90:                               ;   in Loop: Header=BB6_59 Depth=2
	ds_load_b64 v[52:53], v0
	v_add_co_u32 v12, vcc_lo, v12, v83
	v_add_co_ci_u32_e32 v13, vcc_lo, 0, v13, vcc_lo
	s_mov_b32 s36, exec_lo
	s_waitcnt lgkmcnt(0)
	s_delay_alu instid0(VALU_DEP_1)
	v_cmpx_lt_u64_e64 v[52:53], v[12:13]
	s_cbranch_execz .LBB6_105
; %bb.91:                               ;   in Loop: Header=BB6_59 Depth=2
	s_mov_b32 s37, 0
	s_mov_b32 s40, 0
                                        ; implicit-def: $sgpr38
                                        ; implicit-def: $sgpr39
	s_branch .LBB6_97
.LBB6_92:                               ;   in Loop: Header=BB6_59 Depth=2
	v_mad_u64_u32 v[64:65], null, v52, 24, v[6:7]
	v_ashrrev_i32_e32 v9, 31, v8
	s_mov_b32 s28, -1
	s_mov_b32 s36, exec_lo
	s_delay_alu instid0(VALU_DEP_1)
	v_lshlrev_b64 v[53:54], 3, v[8:9]
	flat_load_b32 v2, v[64:65]
	flat_store_b64 v[64:65], v[53:54] offset:8
                                        ; implicit-def: $vgpr54_vgpr55
	s_waitcnt vmcnt(0) lgkmcnt(1)
	v_cmpx_eq_u32_e32 1, v2
	s_cbranch_execz .LBB6_94
; %bb.93:                               ;   in Loop: Header=BB6_59 Depth=2
	flat_load_b32 v52, v[64:65] offset:4 glc
	s_xor_b32 s28, exec_lo, -1
	s_waitcnt vmcnt(0) lgkmcnt(0)
	v_ashrrev_i32_e32 v53, 31, v52
	s_delay_alu instid0(VALU_DEP_1)
	v_lshrrev_b64 v[54:55], 3, v[52:53]
                                        ; implicit-def: $vgpr52_vgpr53
.LBB6_94:                               ;   in Loop: Header=BB6_59 Depth=2
	s_or_b32 exec_lo, exec_lo, s36
	s_delay_alu instid0(SALU_CYCLE_1)
	s_and_b32 s28, s28, exec_lo
	s_and_not1_saveexec_b32 s20, s20
	s_cbranch_execz .LBB6_79
.LBB6_95:                               ;   in Loop: Header=BB6_59 Depth=2
	s_or_b32 s28, s28, exec_lo
                                        ; implicit-def: $vgpr54_vgpr55
	s_or_b32 exec_lo, exec_lo, s20
	s_and_saveexec_b32 s20, s28
	s_cbranch_execnz .LBB6_80
	s_branch .LBB6_81
.LBB6_96:                               ;   in Loop: Header=BB6_97 Depth=3
	s_or_b32 exec_lo, exec_lo, s42
	s_delay_alu instid0(SALU_CYCLE_1) | instskip(NEXT) | instid1(SALU_CYCLE_1)
	s_and_b32 vcc_lo, exec_lo, vcc_lo
	s_or_b32 s37, vcc_lo, s37
	s_and_not1_b32 vcc_lo, s38, exec_lo
	s_and_b32 s38, s39, exec_lo
	s_delay_alu instid0(SALU_CYCLE_1)
	s_or_b32 s38, vcc_lo, s38
	s_and_not1_b32 exec_lo, exec_lo, s37
	s_cbranch_execz .LBB6_103
.LBB6_97:                               ;   Parent Loop BB6_51 Depth=1
                                        ;     Parent Loop BB6_59 Depth=2
                                        ; =>    This Inner Loop Header: Depth=3
	s_add_i32 s40, s40, 1
                                        ; implicit-def: $sgpr42
	s_delay_alu instid0(SALU_CYCLE_1) | instskip(SKIP_1) | instid1(SALU_CYCLE_1)
	s_cmpk_lg_i32 s40, 0x2710
	s_cselect_b32 s41, -1, 0
	s_and_b32 vcc_lo, exec_lo, s41
	s_cbranch_vccz .LBB6_101
.LBB6_98:                               ;   in Loop: Header=BB6_97 Depth=3
	s_and_not1_b32 s39, s39, exec_lo
	s_and_b32 s42, s42, exec_lo
	s_mov_b32 vcc_lo, -1
	s_or_b32 s39, s39, s42
	s_and_saveexec_b32 s42, s41
	s_cbranch_execz .LBB6_96
; %bb.99:                               ;   in Loop: Header=BB6_97 Depth=3
	s_sleep 1
	s_cbranch_execnz .LBB6_1552
; %bb.100:                              ;   in Loop: Header=BB6_97 Depth=3
	ds_load_b64 v[52:53], v0
	s_and_not1_b32 s39, s39, exec_lo
	s_waitcnt lgkmcnt(0)
	v_cmp_ge_u64_e32 vcc_lo, v[52:53], v[12:13]
	s_or_not1_b32 vcc_lo, vcc_lo, exec_lo
	s_branch .LBB6_96
.LBB6_101:                              ;   in Loop: Header=BB6_97 Depth=3
	s_cbranch_execnz .LBB6_1558
; %bb.102:                              ;   in Loop: Header=BB6_97 Depth=3
	ds_load_b64 v[52:53], v0
	s_and_not1_b32 s41, s41, exec_lo
	s_mov_b32 s40, 0
	s_mov_b32 s42, -1
	s_waitcnt lgkmcnt(0)
	flat_load_b32 v2, v[52:53] glc
	s_waitcnt vmcnt(0) lgkmcnt(0)
	buffer_gl1_inv
	buffer_gl0_inv
	v_cmp_eq_u32_e32 vcc_lo, 0, v2
	s_and_b32 vcc_lo, vcc_lo, exec_lo
	s_delay_alu instid0(SALU_CYCLE_1)
	s_or_b32 s41, s41, vcc_lo
	s_branch .LBB6_98
.LBB6_103:                              ;   in Loop: Header=BB6_59 Depth=2
	s_or_b32 exec_lo, exec_lo, s37
	s_and_saveexec_b32 vcc_lo, s38
	s_delay_alu instid0(SALU_CYCLE_1)
	s_xor_b32 vcc_lo, exec_lo, vcc_lo
	s_cbranch_execz .LBB6_105
; %bb.104:                              ;   in Loop: Header=BB6_59 Depth=2
	ds_store_b32 v0, v130
	s_cbranch_execnz .LBB6_1772
.LBB6_105:                              ;   in Loop: Header=BB6_59 Depth=2
	s_or_b32 exec_lo, exec_lo, s36
	;;#ASMSTART
	s_wakeup
	;;#ASMEND
.LBB6_106:                              ;   in Loop: Header=BB6_59 Depth=2
	s_or_b32 exec_lo, exec_lo, s28
.LBB6_107:                              ;   in Loop: Header=BB6_59 Depth=2
	s_and_not1_saveexec_b32 s20, s20
	s_cbranch_execz .LBB6_109
; %bb.108:                              ;   in Loop: Header=BB6_59 Depth=2
	s_waitcnt lgkmcnt(0)
	s_waitcnt_vscnt null, 0x0
	buffer_gl1_inv
	buffer_gl0_inv
	s_barrier
.LBB6_109:                              ;   in Loop: Header=BB6_59 Depth=2
	s_or_b32 exec_lo, exec_lo, s20
.LBB6_110:                              ;   in Loop: Header=BB6_59 Depth=2
	s_delay_alu instid0(SALU_CYCLE_1)
	s_or_b32 exec_lo, exec_lo, s6
	s_cbranch_execnz .LBB6_1455
; %bb.111:                              ;   in Loop: Header=BB6_59 Depth=2
	ds_load_b32 v11, v0
	v_and_b32_e32 v2, 0x4000, v30
	s_xor_b32 s6, s2, -1
	s_delay_alu instid0(VALU_DEP_1) | instskip(SKIP_1) | instid1(SALU_CYCLE_1)
	v_cmp_ne_u32_e32 vcc_lo, 0, v2
	s_and_b32 s20, s6, vcc_lo
	s_and_saveexec_b32 s6, s20
	s_cbranch_execz .LBB6_133
; %bb.112:                              ;   in Loop: Header=BB6_59 Depth=2
	s_and_saveexec_b32 s20, s4
	s_delay_alu instid0(SALU_CYCLE_1)
	s_xor_b32 s20, exec_lo, s20
	s_cbranch_execz .LBB6_130
; %bb.113:                              ;   in Loop: Header=BB6_59 Depth=2
	s_and_saveexec_b32 s28, s1
	s_cbranch_execz .LBB6_129
; %bb.114:                              ;   in Loop: Header=BB6_59 Depth=2
	s_mov_b32 s37, exec_lo
	s_mov_b32 s36, exec_lo
	v_mbcnt_lo_u32_b32 v2, s37, 0
	s_waitcnt lgkmcnt(0)
	s_waitcnt_vscnt null, 0x0
	buffer_gl1_inv
	buffer_gl0_inv
	v_cmpx_eq_u32_e32 0, v2
	s_cbranch_execz .LBB6_116
; %bb.115:                              ;   in Loop: Header=BB6_59 Depth=2
	s_bcnt1_i32_b32 vcc_lo, s37
	s_delay_alu instid0(SALU_CYCLE_1)
	v_mov_b32_e32 v2, vcc_lo
	ds_add_u64 v0, v[2:3]
	s_cbranch_execnz .LBB6_1550
.LBB6_116:                              ;   in Loop: Header=BB6_59 Depth=2
	s_or_b32 exec_lo, exec_lo, s36
	s_cbranch_execnz .LBB6_1538
; %bb.117:                              ;   in Loop: Header=BB6_59 Depth=2
	ds_load_b64 v[52:53], v0
	v_add_co_u32 v12, vcc_lo, v12, v83
	v_add_co_ci_u32_e32 v13, vcc_lo, 0, v13, vcc_lo
	s_mov_b32 s36, exec_lo
	s_waitcnt lgkmcnt(0)
	s_delay_alu instid0(VALU_DEP_1)
	v_cmpx_lt_u64_e64 v[52:53], v[12:13]
	s_cbranch_execz .LBB6_128
; %bb.118:                              ;   in Loop: Header=BB6_59 Depth=2
	s_mov_b32 s37, 0
	s_mov_b32 s40, 0
                                        ; implicit-def: $sgpr38
                                        ; implicit-def: $sgpr39
	s_branch .LBB6_120
.LBB6_119:                              ;   in Loop: Header=BB6_120 Depth=3
	s_or_b32 exec_lo, exec_lo, s42
	s_delay_alu instid0(SALU_CYCLE_1) | instskip(NEXT) | instid1(SALU_CYCLE_1)
	s_and_b32 vcc_lo, exec_lo, vcc_lo
	s_or_b32 s37, vcc_lo, s37
	s_and_not1_b32 vcc_lo, s38, exec_lo
	s_and_b32 s38, s39, exec_lo
	s_delay_alu instid0(SALU_CYCLE_1)
	s_or_b32 s38, vcc_lo, s38
	s_and_not1_b32 exec_lo, exec_lo, s37
	s_cbranch_execz .LBB6_126
.LBB6_120:                              ;   Parent Loop BB6_51 Depth=1
                                        ;     Parent Loop BB6_59 Depth=2
                                        ; =>    This Inner Loop Header: Depth=3
	s_add_i32 s40, s40, 1
                                        ; implicit-def: $sgpr42
	s_delay_alu instid0(SALU_CYCLE_1) | instskip(SKIP_1) | instid1(SALU_CYCLE_1)
	s_cmpk_lg_i32 s40, 0x2710
	s_cselect_b32 s41, -1, 0
	s_and_b32 vcc_lo, exec_lo, s41
	s_cbranch_vccz .LBB6_124
.LBB6_121:                              ;   in Loop: Header=BB6_120 Depth=3
	s_and_not1_b32 s39, s39, exec_lo
	s_and_b32 s42, s42, exec_lo
	s_mov_b32 vcc_lo, -1
	s_or_b32 s39, s39, s42
	s_and_saveexec_b32 s42, s41
	s_cbranch_execz .LBB6_119
; %bb.122:                              ;   in Loop: Header=BB6_120 Depth=3
	s_sleep 1
	s_cbranch_execnz .LBB6_1592
; %bb.123:                              ;   in Loop: Header=BB6_120 Depth=3
	ds_load_b64 v[52:53], v0
	s_and_not1_b32 s39, s39, exec_lo
	s_waitcnt lgkmcnt(0)
	v_cmp_ge_u64_e32 vcc_lo, v[52:53], v[12:13]
	s_or_not1_b32 vcc_lo, vcc_lo, exec_lo
	s_branch .LBB6_119
.LBB6_124:                              ;   in Loop: Header=BB6_120 Depth=3
	s_cbranch_execnz .LBB6_1610
; %bb.125:                              ;   in Loop: Header=BB6_120 Depth=3
	ds_load_b64 v[52:53], v0
	s_and_not1_b32 s41, s41, exec_lo
	s_mov_b32 s40, 0
	s_mov_b32 s42, -1
	s_waitcnt lgkmcnt(0)
	flat_load_b32 v2, v[52:53] glc
	s_waitcnt vmcnt(0) lgkmcnt(0)
	buffer_gl1_inv
	buffer_gl0_inv
	v_cmp_eq_u32_e32 vcc_lo, 0, v2
	s_and_b32 vcc_lo, vcc_lo, exec_lo
	s_delay_alu instid0(SALU_CYCLE_1)
	s_or_b32 s41, s41, vcc_lo
	s_branch .LBB6_121
.LBB6_126:                              ;   in Loop: Header=BB6_59 Depth=2
	s_or_b32 exec_lo, exec_lo, s37
	s_and_saveexec_b32 vcc_lo, s38
	s_delay_alu instid0(SALU_CYCLE_1)
	s_xor_b32 vcc_lo, exec_lo, vcc_lo
	s_cbranch_execz .LBB6_128
; %bb.127:                              ;   in Loop: Header=BB6_59 Depth=2
	ds_store_b32 v0, v130
	s_cbranch_execnz .LBB6_1824
.LBB6_128:                              ;   in Loop: Header=BB6_59 Depth=2
	s_or_b32 exec_lo, exec_lo, s36
	;;#ASMSTART
	s_wakeup
	;;#ASMEND
.LBB6_129:                              ;   in Loop: Header=BB6_59 Depth=2
	s_or_b32 exec_lo, exec_lo, s28
.LBB6_130:                              ;   in Loop: Header=BB6_59 Depth=2
	s_and_not1_saveexec_b32 s20, s20
	s_cbranch_execz .LBB6_132
; %bb.131:                              ;   in Loop: Header=BB6_59 Depth=2
	s_waitcnt lgkmcnt(0)
	s_waitcnt_vscnt null, 0x0
	buffer_gl1_inv
	buffer_gl0_inv
	s_barrier
.LBB6_132:                              ;   in Loop: Header=BB6_59 Depth=2
	s_or_b32 exec_lo, exec_lo, s20
.LBB6_133:                              ;   in Loop: Header=BB6_59 Depth=2
	s_delay_alu instid0(SALU_CYCLE_1)
	s_or_b32 exec_lo, exec_lo, s6
	s_cbranch_execnz .LBB6_1481
; %bb.134:                              ;   in Loop: Header=BB6_59 Depth=2
	ds_load_b64 v[52:53], v0
	v_mov_b32_e32 v9, 0
	s_waitcnt lgkmcnt(0)
	v_cmp_eq_u64_e32 vcc_lo, 0, v[52:53]
	s_or_b32 s6, vcc_lo, vcc_lo
	s_delay_alu instid0(SALU_CYCLE_1)
	s_and_b32 vcc_lo, exec_lo, s6
	s_cbranch_vccnz .LBB6_169
; %bb.135:                              ;   in Loop: Header=BB6_59 Depth=2
	s_mov_b32 s36, s13
	s_mov_b32 s6, s14
	s_mov_b32 s13, -1
	s_and_saveexec_b32 s14, s5
	s_cbranch_execz .LBB6_137
; %bb.136:                              ;   in Loop: Header=BB6_59 Depth=2
	ds_load_b32 v2, v0 offset:720
	s_waitcnt lgkmcnt(0)
	v_and_b32_e32 v2, 15, v2
	s_delay_alu instid0(VALU_DEP_1)
	v_cmp_eq_u32_e32 vcc_lo, 0, v2
	s_or_not1_b32 s13, vcc_lo, exec_lo
.LBB6_137:                              ;   in Loop: Header=BB6_59 Depth=2
	s_or_b32 exec_lo, exec_lo, s14
	s_and_saveexec_b32 s14, vcc_hi
	s_cbranch_execz .LBB6_139
; %bb.138:                              ;   in Loop: Header=BB6_59 Depth=2
	ds_load_b32 v2, v0 offset:784
	s_waitcnt lgkmcnt(0)
	v_and_b32_e32 v2, 15, v2
	s_delay_alu instid0(VALU_DEP_1) | instskip(SKIP_3) | instid1(SALU_CYCLE_1)
	v_cmp_eq_u32_e32 vcc_lo, 0, v2
	s_and_b32 s20, s13, vcc_lo
	s_and_not1_b32 s13, s13, exec_lo
	s_and_b32 s20, s20, exec_lo
	s_or_b32 s13, s13, s20
.LBB6_139:                              ;   in Loop: Header=BB6_59 Depth=2
	s_or_b32 exec_lo, exec_lo, s14
	v_cmp_eq_u32_e32 vcc_lo, 0, v11
	s_xor_b32 s13, s13, -1
	v_mov_b32_e32 v11, 0
	v_cndmask_b32_e64 v2, 0, 1, s13
	;;#ASMSTART
	;;#ASMEND
	v_cndmask_b32_e32 v9, 0, v8, vcc_lo
	s_delay_alu instid0(VALU_DEP_2) | instskip(SKIP_1) | instid1(VALU_DEP_2)
	v_cmp_ne_u32_e32 vcc_lo, 0, v2
	s_mov_b32 s13, -1
	v_lshlrev_b32_e32 v2, 3, v9
	s_cbranch_vccz .LBB6_141
; %bb.140:                              ;   in Loop: Header=BB6_59 Depth=2
	v_mov_b32_e32 v64, v0
	v_mov_b32_e32 v68, v84
	s_branch .LBB6_156
.LBB6_141:                              ;   in Loop: Header=BB6_59 Depth=2
	s_delay_alu instid0(VALU_DEP_1) | instskip(SKIP_1) | instid1(VALU_DEP_1)
	v_ashrrev_i32_e32 v11, 31, v2
	s_mov_b32 s13, exec_lo
	v_lshrrev_b32_e32 v11, 20, v11
	s_delay_alu instid0(VALU_DEP_1) | instskip(NEXT) | instid1(VALU_DEP_1)
	v_add_nc_u32_e32 v11, v2, v11
	v_ashrrev_i32_e32 v11, 12, v11
	s_delay_alu instid0(VALU_DEP_1) | instskip(NEXT) | instid1(VALU_DEP_1)
	v_sub_nc_u32_e32 v65, v11, v84
	v_cmpx_lt_i32_e32 0, v65
	s_cbranch_execz .LBB6_146
; %bb.142:                              ;   in Loop: Header=BB6_59 Depth=2
	s_cbranch_execnz .LBB6_1562
; %bb.143:                              ;   in Loop: Header=BB6_59 Depth=2
	ds_load_b64 v[52:53], v0
	s_mov_b32 s14, 0
	s_waitcnt lgkmcnt(0)
	v_dual_mov_b32 v55, v53 :: v_dual_mov_b32 v54, v52
.LBB6_144:                              ;   Parent Loop BB6_51 Depth=1
                                        ;     Parent Loop BB6_59 Depth=2
                                        ; =>    This Inner Loop Header: Depth=3
	s_delay_alu instid0(VALU_DEP_1) | instskip(NEXT) | instid1(VALU_DEP_2)
	v_add_co_u32 v180, vcc_lo, v86, v54
	v_add_co_ci_u32_e32 v181, vcc_lo, v96, v55, vcc_lo
	v_add_co_u32 v40, vcc_lo, v86, v52
	v_add_co_ci_u32_e32 v41, vcc_lo, v96, v53, vcc_lo
	s_clause 0x7
	global_load_b128 v[67:70], v[180:181], off slc dlc
	global_load_b128 v[131:134], v[180:181], off offset:512 slc dlc
	global_load_b128 v[144:147], v[180:181], off offset:1024 slc dlc
	;; [unrolled: 1-line block ×7, first 2 shown]
	v_add_co_u32 v54, vcc_lo, v54, v98
	v_sub_nc_u32_e32 v65, v65, v83
	v_add_co_ci_u32_e32 v55, vcc_lo, v55, v99, vcc_lo
	v_add_co_u32 v52, vcc_lo, v52, v98
	v_add_co_ci_u32_e32 v53, vcc_lo, v53, v99, vcc_lo
	s_delay_alu instid0(VALU_DEP_4)
	v_cmp_gt_i32_e32 vcc_lo, 1, v65
	s_waitcnt vmcnt(7)
	global_store_b128 v[40:41], v[67:70], off glc slc dlc
	s_waitcnt vmcnt(6)
	global_store_b128 v[40:41], v[131:134], off offset:512 glc slc dlc
	s_waitcnt vmcnt(5)
	global_store_b128 v[40:41], v[144:147], off offset:1024 glc slc dlc
	;; [unrolled: 2-line block ×7, first 2 shown]
	s_or_b32 s14, vcc_lo, s14
	s_delay_alu instid0(SALU_CYCLE_1)
	s_and_not1_b32 exec_lo, exec_lo, s14
	s_cbranch_execnz .LBB6_144
; %bb.145:                              ;   in Loop: Header=BB6_59 Depth=2
	s_or_b32 exec_lo, exec_lo, s14
.LBB6_146:                              ;   in Loop: Header=BB6_59 Depth=2
	s_delay_alu instid0(SALU_CYCLE_1) | instskip(SKIP_3) | instid1(VALU_DEP_1)
	s_or_b32 exec_lo, exec_lo, s13
	v_dual_mov_b32 v11, 0 :: v_dual_lshlrev_b32 v54, 12, v11
	s_mov_b32 s13, 0
	s_mov_b32 s20, exec_lo
                                        ; implicit-def: $vgpr64
                                        ; implicit-def: $vgpr68
	v_cmpx_ne_u32_e64 v2, v54
	s_cbranch_execz .LBB6_155
; %bb.147:                              ;   in Loop: Header=BB6_59 Depth=2
	v_lshlrev_b32_e32 v11, 5, v65
	v_sub_nc_u32_e32 v53, v2, v54
	s_mov_b32 s28, exec_lo
	s_delay_alu instid0(VALU_DEP_2) | instskip(NEXT) | instid1(VALU_DEP_2)
	v_sub_nc_u32_e32 v11, v85, v11
	v_ashrrev_i32_e32 v55, 31, v53
	s_delay_alu instid0(VALU_DEP_2) | instskip(NEXT) | instid1(VALU_DEP_2)
	v_ashrrev_i32_e32 v52, 31, v11
	v_lshrrev_b32_e32 v55, 23, v55
	s_delay_alu instid0(VALU_DEP_2) | instskip(NEXT) | instid1(VALU_DEP_2)
	v_lshrrev_b32_e32 v52, 27, v52
	v_add_nc_u32_e32 v68, v53, v55
	s_delay_alu instid0(VALU_DEP_2) | instskip(NEXT) | instid1(VALU_DEP_2)
	v_add_nc_u32_e32 v52, v11, v52
	v_and_b32_e32 v55, 0xfffffe00, v68
	v_ashrrev_i32_e32 v68, 9, v68
	s_delay_alu instid0(VALU_DEP_3) | instskip(NEXT) | instid1(VALU_DEP_3)
	v_and_b32_e32 v64, 0xffffffe0, v52
	v_sub_nc_u32_e32 v67, v53, v55
	v_ashrrev_i32_e32 v52, 5, v52
	s_delay_alu instid0(VALU_DEP_3) | instskip(NEXT) | instid1(VALU_DEP_3)
	v_sub_nc_u32_e32 v65, v11, v64
	v_cmp_lt_i32_e32 vcc_lo, 15, v67
	s_delay_alu instid0(VALU_DEP_2) | instskip(SKIP_1) | instid1(VALU_DEP_2)
	v_lshlrev_b32_e32 v11, 4, v65
	v_add_co_ci_u32_e64 v68, s13, 0, v68, vcc_lo
	v_lshl_add_u32 v64, v52, 9, v11
	s_delay_alu instid0(VALU_DEP_2) | instskip(NEXT) | instid1(VALU_DEP_2)
	v_sub_nc_u32_e32 v69, v68, v52
	v_sub_nc_u32_e32 v11, v53, v64
	s_delay_alu instid0(VALU_DEP_1)
	v_cmpx_lt_i32_e32 15, v11
	s_cbranch_execz .LBB6_152
; %bb.148:                              ;   in Loop: Header=BB6_59 Depth=2
	s_cbranch_execnz .LBB6_1628
; %bb.149:                              ;   in Loop: Header=BB6_59 Depth=2
	ds_load_b64 v[52:53], v0
	v_add_nc_u32_e32 v64, v64, v54
	s_mov_b32 s37, 0
	s_delay_alu instid0(VALU_DEP_1)
	v_ashrrev_i32_e32 v68, 31, v64
.LBB6_150:                              ;   Parent Loop BB6_51 Depth=1
                                        ;     Parent Loop BB6_59 Depth=2
                                        ; =>    This Inner Loop Header: Depth=3
	s_waitcnt lgkmcnt(0)
	v_add_co_u32 v70, s13, v52, v64
	s_delay_alu instid0(VALU_DEP_1)
	v_add_co_ci_u32_e64 v71, s13, v53, v68, s13
	v_sub_nc_u32_e32 v11, v11, v87
	v_add_co_u32 v64, s14, v64, v102
	global_load_b128 v[131:134], v[70:71], off slc dlc
	v_sub_nc_u32_e32 v69, v69, v83
	v_cmp_gt_i32_e64 s13, 16, v11
	v_add_co_ci_u32_e64 v68, s14, v68, v103, s14
	s_delay_alu instid0(VALU_DEP_2)
	s_or_b32 s37, s13, s37
	s_waitcnt vmcnt(0)
	global_store_b128 v[70:71], v[131:134], off glc slc dlc
	s_and_not1_b32 exec_lo, exec_lo, s37
	s_cbranch_execnz .LBB6_150
; %bb.151:                              ;   in Loop: Header=BB6_59 Depth=2
	s_or_b32 exec_lo, exec_lo, s37
.LBB6_152:                              ;   in Loop: Header=BB6_59 Depth=2
	s_delay_alu instid0(SALU_CYCLE_1) | instskip(SKIP_3) | instid1(VALU_DEP_1)
	s_or_b32 exec_lo, exec_lo, s28
	v_dual_mov_b32 v11, 0 :: v_dual_and_b32 v52, 8, v2
	s_mov_b32 s14, 0
	s_mov_b32 s28, exec_lo
                                        ; implicit-def: $vgpr64
                                        ; implicit-def: $vgpr68
	v_cndmask_b32_e32 v2, v67, v52, vcc_lo
	s_delay_alu instid0(VALU_DEP_1)
	v_cmpx_ne_u32_e32 0, v2
; %bb.153:                              ;   in Loop: Header=BB6_59 Depth=2
	v_cmp_lt_i32_e64 s13, 0, v69
	v_sub_nc_u32_e32 v52, v67, v52
	s_mov_b32 s14, exec_lo
	s_delay_alu instid0(VALU_DEP_2) | instskip(NEXT) | instid1(VALU_DEP_1)
	v_cndmask_b32_e64 v11, 0, v83, s13
	v_sub_nc_u32_e32 v11, v11, v69
	s_delay_alu instid0(VALU_DEP_1) | instskip(NEXT) | instid1(VALU_DEP_1)
	v_lshl_add_u32 v64, v11, 5, v65
	v_ashrrev_i32_e32 v11, 31, v64
	s_delay_alu instid0(VALU_DEP_1) | instskip(NEXT) | instid1(VALU_DEP_1)
	v_lshrrev_b32_e32 v11, 27, v11
	v_dual_cndmask_b32 v52, 0, v52 :: v_dual_add_nc_u32 v53, v64, v11
	s_delay_alu instid0(VALU_DEP_1) | instskip(NEXT) | instid1(VALU_DEP_2)
	v_add3_u32 v11, v55, v54, v52
	v_ashrrev_i32_e32 v68, 5, v53
; %bb.154:                              ;   in Loop: Header=BB6_59 Depth=2
	s_or_b32 exec_lo, exec_lo, s28
	s_delay_alu instid0(SALU_CYCLE_1)
	s_and_b32 s13, s14, exec_lo
.LBB6_155:                              ;   in Loop: Header=BB6_59 Depth=2
	s_or_b32 exec_lo, exec_lo, s20
.LBB6_156:                              ;   in Loop: Header=BB6_59 Depth=2
	s_and_saveexec_b32 s14, s13
	s_cbranch_execz .LBB6_168
; %bb.157:                              ;   in Loop: Header=BB6_59 Depth=2
	v_ashrrev_i32_e32 v52, 31, v2
	s_mov_b32 s20, exec_lo
	s_delay_alu instid0(VALU_DEP_1) | instskip(NEXT) | instid1(VALU_DEP_1)
	v_lshrrev_b32_e32 v52, 22, v52
	v_add_nc_u32_e32 v52, v2, v52
	s_delay_alu instid0(VALU_DEP_1) | instskip(NEXT) | instid1(VALU_DEP_1)
	v_ashrrev_i32_e32 v67, 10, v52
	v_sub_nc_u32_e32 v65, v67, v68
	s_delay_alu instid0(VALU_DEP_1)
	v_cmpx_lt_i32_e32 0, v65
	s_cbranch_execz .LBB6_162
; %bb.158:                              ;   in Loop: Header=BB6_59 Depth=2
	s_cbranch_execnz .LBB6_1556
; %bb.159:                              ;   in Loop: Header=BB6_59 Depth=2
	v_ashrrev_i32_e32 v52, 31, v64
	s_mov_b32 s28, 0
	s_delay_alu instid0(VALU_DEP_1) | instskip(NEXT) | instid1(VALU_DEP_1)
	v_lshrrev_b32_e32 v52, 27, v52
	v_add_nc_u32_e32 v52, v64, v52
	s_delay_alu instid0(VALU_DEP_1) | instskip(SKIP_3) | instid1(VALU_DEP_1)
	v_and_b32_e32 v54, 0x1fffffe0, v52
	ds_load_b64 v[52:53], v0
	v_lshlrev_b32_e32 v55, 10, v68
	v_sub_nc_u32_e32 v54, v64, v54
	v_lshlrev_b32_e32 v54, 3, v54
	s_delay_alu instid0(VALU_DEP_1) | instskip(NEXT) | instid1(VALU_DEP_1)
	v_add3_u32 v68, v54, v11, v55
	v_ashrrev_i32_e32 v69, 31, v68
	s_waitcnt lgkmcnt(0)
	v_dual_mov_b32 v55, v53 :: v_dual_mov_b32 v54, v52
	s_set_inst_prefetch_distance 0x1
.LBB6_160:                              ;   Parent Loop BB6_51 Depth=1
                                        ;     Parent Loop BB6_59 Depth=2
                                        ; =>    This Inner Loop Header: Depth=3
	s_delay_alu instid0(VALU_DEP_1) | instskip(NEXT) | instid1(VALU_DEP_2)
	v_add_co_u32 v70, vcc_lo, v68, v54
	v_add_co_ci_u32_e32 v71, vcc_lo, v69, v55, vcc_lo
	v_add_co_u32 v146, vcc_lo, v68, v52
	v_sub_nc_u32_e32 v65, v65, v83
	s_clause 0x3
	flat_load_b64 v[131:132], v[70:71] slc dlc
	flat_load_b64 v[133:134], v[70:71] offset:256 slc dlc
	flat_load_b64 v[144:145], v[70:71] offset:512 slc dlc
	;; [unrolled: 1-line block ×3, first 2 shown]
	v_add_co_ci_u32_e32 v147, vcc_lo, v69, v53, vcc_lo
	v_add_co_u32 v54, vcc_lo, v54, v113
	v_add_co_ci_u32_e32 v55, vcc_lo, v55, v114, vcc_lo
	v_add_co_u32 v52, vcc_lo, v52, v113
	v_cmp_gt_i32_e64 s13, 1, v65
	v_add_co_ci_u32_e32 v53, vcc_lo, v53, v114, vcc_lo
	s_waitcnt vmcnt(3) lgkmcnt(3)
	flat_store_b64 v[146:147], v[131:132] glc slc dlc
	s_waitcnt vmcnt(2) lgkmcnt(3)
	flat_store_b64 v[146:147], v[133:134] offset:256 glc slc dlc
	s_waitcnt vmcnt(1) lgkmcnt(3)
	flat_store_b64 v[146:147], v[144:145] offset:512 glc slc dlc
	;; [unrolled: 2-line block ×3, first 2 shown]
	s_or_b32 s28, s13, s28
	s_delay_alu instid0(SALU_CYCLE_1)
	s_and_not1_b32 exec_lo, exec_lo, s28
	s_cbranch_execnz .LBB6_160
; %bb.161:                              ;   in Loop: Header=BB6_59 Depth=2
	s_set_inst_prefetch_distance 0x2
	s_or_b32 exec_lo, exec_lo, s28
.LBB6_162:                              ;   in Loop: Header=BB6_59 Depth=2
	s_delay_alu instid0(SALU_CYCLE_1) | instskip(SKIP_2) | instid1(VALU_DEP_1)
	s_or_b32 exec_lo, exec_lo, s20
	v_lshlrev_b32_e32 v52, 10, v67
	s_mov_b32 s20, exec_lo
	v_cmpx_ne_u32_e64 v2, v52
	s_cbranch_execz .LBB6_167
; %bb.163:                              ;   in Loop: Header=BB6_59 Depth=2
	v_ashrrev_i32_e32 v53, 31, v64
	v_lshlrev_b32_e32 v54, 5, v65
	s_delay_alu instid0(VALU_DEP_2) | instskip(NEXT) | instid1(VALU_DEP_1)
	v_lshrrev_b32_e32 v53, 27, v53
	v_add_nc_u32_e32 v53, v64, v53
	s_delay_alu instid0(VALU_DEP_1) | instskip(NEXT) | instid1(VALU_DEP_1)
	v_and_b32_e32 v53, 0xffffffe0, v53
	v_sub_nc_u32_e32 v53, v64, v53
	s_delay_alu instid0(VALU_DEP_1) | instskip(NEXT) | instid1(VALU_DEP_1)
	v_sub_nc_u32_e32 v53, v53, v54
	v_ashrrev_i32_e32 v54, 31, v53
	s_delay_alu instid0(VALU_DEP_1) | instskip(NEXT) | instid1(VALU_DEP_1)
	v_lshrrev_b32_e32 v54, 27, v54
	v_add_nc_u32_e32 v54, v53, v54
	s_delay_alu instid0(VALU_DEP_1) | instskip(SKIP_1) | instid1(VALU_DEP_2)
	v_and_b32_e32 v55, 0x1fffffe0, v54
	v_lshlrev_b32_e32 v54, 3, v54
	v_sub_nc_u32_e32 v53, v53, v55
	s_delay_alu instid0(VALU_DEP_2) | instskip(NEXT) | instid1(VALU_DEP_2)
	v_and_b32_e32 v54, 0xffffff00, v54
	v_lshlrev_b32_e32 v53, 3, v53
	s_delay_alu instid0(VALU_DEP_1) | instskip(NEXT) | instid1(VALU_DEP_1)
	v_add3_u32 v54, v54, v53, v52
	v_sub_nc_u32_e32 v2, v2, v54
	s_delay_alu instid0(VALU_DEP_1)
	v_cmp_lt_i32_e32 vcc_lo, 7, v2
	s_and_b32 exec_lo, exec_lo, vcc_lo
	s_cbranch_execz .LBB6_167
; %bb.164:                              ;   in Loop: Header=BB6_59 Depth=2
	s_cbranch_execnz .LBB6_1620
; %bb.165:                              ;   in Loop: Header=BB6_59 Depth=2
	ds_load_b64 v[52:53], v0
	v_add_nc_u32_e32 v11, v54, v11
	s_mov_b32 s28, 0
	s_delay_alu instid0(VALU_DEP_1)
	v_ashrrev_i32_e32 v54, 31, v11
.LBB6_166:                              ;   Parent Loop BB6_51 Depth=1
                                        ;     Parent Loop BB6_59 Depth=2
                                        ; =>    This Inner Loop Header: Depth=3
	s_waitcnt lgkmcnt(0)
	v_add_co_u32 v64, vcc_lo, v52, v11
	s_delay_alu instid0(VALU_DEP_2)
	v_add_co_ci_u32_e32 v65, vcc_lo, v53, v54, vcc_lo
	v_sub_nc_u32_e32 v2, v2, v101
	v_add_co_u32 v11, s13, v11, v116
	flat_load_b64 v[67:68], v[64:65] slc dlc
	v_add_co_ci_u32_e64 v54, s13, v54, v117, s13
	v_cmp_gt_i32_e32 vcc_lo, 8, v2
	s_or_b32 s28, vcc_lo, s28
	s_waitcnt vmcnt(0) lgkmcnt(0)
	flat_store_b64 v[64:65], v[67:68] glc slc dlc
	s_and_not1_b32 exec_lo, exec_lo, s28
	s_cbranch_execnz .LBB6_166
.LBB6_167:                              ;   in Loop: Header=BB6_59 Depth=2
	s_or_b32 exec_lo, exec_lo, s20
.LBB6_168:                              ;   in Loop: Header=BB6_59 Depth=2
	s_delay_alu instid0(SALU_CYCLE_1)
	s_or_b32 exec_lo, exec_lo, s14
	s_mov_b32 s14, s6
	s_mov_b32 s13, s36
.LBB6_169:                              ;   in Loop: Header=BB6_59 Depth=2
	s_and_saveexec_b32 s6, s3
	s_cbranch_execz .LBB6_191
; %bb.170:                              ;   in Loop: Header=BB6_59 Depth=2
	s_mov_b32 s36, s4
	s_and_saveexec_b32 s20, s4
	s_delay_alu instid0(SALU_CYCLE_1)
	s_xor_b32 s4, exec_lo, s20
	s_cbranch_execz .LBB6_188
; %bb.171:                              ;   in Loop: Header=BB6_59 Depth=2
	s_mov_b32 s20, s1
	s_and_saveexec_b32 s28, s1
	s_cbranch_execz .LBB6_187
; %bb.172:                              ;   in Loop: Header=BB6_59 Depth=2
	s_mov_b32 s37, exec_lo
	s_mov_b32 s1, exec_lo
	v_mbcnt_lo_u32_b32 v2, s37, 0
	s_waitcnt lgkmcnt(0)
	s_waitcnt_vscnt null, 0x0
	buffer_gl1_inv
	buffer_gl0_inv
	v_cmpx_eq_u32_e32 0, v2
	s_cbranch_execz .LBB6_174
; %bb.173:                              ;   in Loop: Header=BB6_59 Depth=2
	s_bcnt1_i32_b32 vcc_lo, s37
	s_delay_alu instid0(SALU_CYCLE_1)
	v_mov_b32_e32 v2, vcc_lo
	ds_add_u64 v0, v[2:3]
	s_cbranch_execnz .LBB6_1594
.LBB6_174:                              ;   in Loop: Header=BB6_59 Depth=2
	s_or_b32 exec_lo, exec_lo, s1
	s_cbranch_execnz .LBB6_1570
; %bb.175:                              ;   in Loop: Header=BB6_59 Depth=2
	ds_load_b64 v[52:53], v0
	v_add_co_u32 v12, vcc_lo, v12, v83
	v_add_co_ci_u32_e32 v13, vcc_lo, 0, v13, vcc_lo
	s_mov_b32 s1, exec_lo
	s_waitcnt lgkmcnt(0)
	s_delay_alu instid0(VALU_DEP_1)
	v_cmpx_lt_u64_e64 v[52:53], v[12:13]
	s_cbranch_execz .LBB6_186
; %bb.176:                              ;   in Loop: Header=BB6_59 Depth=2
	s_mov_b32 s37, 0
	s_mov_b32 s40, 0
                                        ; implicit-def: $sgpr38
                                        ; implicit-def: $sgpr39
	s_branch .LBB6_178
.LBB6_177:                              ;   in Loop: Header=BB6_178 Depth=3
	s_or_b32 exec_lo, exec_lo, s42
	s_delay_alu instid0(SALU_CYCLE_1) | instskip(NEXT) | instid1(SALU_CYCLE_1)
	s_and_b32 vcc_lo, exec_lo, vcc_lo
	s_or_b32 s37, vcc_lo, s37
	s_and_not1_b32 vcc_lo, s38, exec_lo
	s_and_b32 s38, s39, exec_lo
	s_delay_alu instid0(SALU_CYCLE_1)
	s_or_b32 s38, vcc_lo, s38
	s_and_not1_b32 exec_lo, exec_lo, s37
	s_cbranch_execz .LBB6_184
.LBB6_178:                              ;   Parent Loop BB6_51 Depth=1
                                        ;     Parent Loop BB6_59 Depth=2
                                        ; =>    This Inner Loop Header: Depth=3
	s_add_i32 s40, s40, 1
                                        ; implicit-def: $sgpr42
	s_delay_alu instid0(SALU_CYCLE_1) | instskip(SKIP_1) | instid1(SALU_CYCLE_1)
	s_cmpk_lg_i32 s40, 0x2710
	s_cselect_b32 s41, -1, 0
	s_and_b32 vcc_lo, exec_lo, s41
	s_cbranch_vccz .LBB6_182
.LBB6_179:                              ;   in Loop: Header=BB6_178 Depth=3
	s_and_not1_b32 s39, s39, exec_lo
	s_and_b32 s42, s42, exec_lo
	s_mov_b32 vcc_lo, -1
	s_or_b32 s39, s39, s42
	s_and_saveexec_b32 s42, s41
	s_cbranch_execz .LBB6_177
; %bb.180:                              ;   in Loop: Header=BB6_178 Depth=3
	s_sleep 1
	s_cbranch_execnz .LBB6_1646
; %bb.181:                              ;   in Loop: Header=BB6_178 Depth=3
	ds_load_b64 v[52:53], v0
	s_and_not1_b32 s39, s39, exec_lo
	s_waitcnt lgkmcnt(0)
	v_cmp_ge_u64_e32 vcc_lo, v[52:53], v[12:13]
	s_or_not1_b32 vcc_lo, vcc_lo, exec_lo
	s_branch .LBB6_177
.LBB6_182:                              ;   in Loop: Header=BB6_178 Depth=3
	s_cbranch_execnz .LBB6_1656
; %bb.183:                              ;   in Loop: Header=BB6_178 Depth=3
	ds_load_b64 v[52:53], v0
	s_and_not1_b32 s41, s41, exec_lo
	s_mov_b32 s40, 0
	s_mov_b32 s42, -1
	s_waitcnt lgkmcnt(0)
	flat_load_b32 v2, v[52:53] glc
	s_waitcnt vmcnt(0) lgkmcnt(0)
	buffer_gl1_inv
	buffer_gl0_inv
	v_cmp_eq_u32_e32 vcc_lo, 0, v2
	s_and_b32 vcc_lo, vcc_lo, exec_lo
	s_delay_alu instid0(SALU_CYCLE_1)
	s_or_b32 s41, s41, vcc_lo
	s_branch .LBB6_179
.LBB6_184:                              ;   in Loop: Header=BB6_59 Depth=2
	s_or_b32 exec_lo, exec_lo, s37
	s_and_saveexec_b32 vcc_lo, s38
	s_delay_alu instid0(SALU_CYCLE_1)
	s_xor_b32 vcc_lo, exec_lo, vcc_lo
	s_cbranch_execz .LBB6_186
; %bb.185:                              ;   in Loop: Header=BB6_59 Depth=2
	ds_store_b32 v0, v130
	s_cbranch_execnz .LBB6_1870
.LBB6_186:                              ;   in Loop: Header=BB6_59 Depth=2
	s_or_b32 exec_lo, exec_lo, s1
	;;#ASMSTART
	s_wakeup
	;;#ASMEND
.LBB6_187:                              ;   in Loop: Header=BB6_59 Depth=2
	s_or_b32 exec_lo, exec_lo, s28
	s_mov_b32 s1, s20
.LBB6_188:                              ;   in Loop: Header=BB6_59 Depth=2
	s_and_not1_saveexec_b32 s4, s4
	s_cbranch_execz .LBB6_190
; %bb.189:                              ;   in Loop: Header=BB6_59 Depth=2
	s_waitcnt lgkmcnt(0)
	s_waitcnt_vscnt null, 0x0
	buffer_gl1_inv
	buffer_gl0_inv
	s_barrier
.LBB6_190:                              ;   in Loop: Header=BB6_59 Depth=2
	s_or_b32 exec_lo, exec_lo, s4
	s_mov_b32 s4, s36
.LBB6_191:                              ;   in Loop: Header=BB6_59 Depth=2
	s_or_b32 exec_lo, exec_lo, s6
                                        ; implicit-def: $vgpr2
	s_and_saveexec_b32 s6, s7
	s_delay_alu instid0(SALU_CYCLE_1)
	s_xor_b32 s6, exec_lo, s6
	s_cbranch_execz .LBB6_195
; %bb.192:                              ;   in Loop: Header=BB6_59 Depth=2
	v_and_b32_e32 v2, 16, v30
	s_mov_b32 s20, s13
	v_cmp_lt_i32_e32 vcc_lo, 0, v9
	s_delay_alu instid0(VALU_DEP_2) | instskip(SKIP_1) | instid1(VALU_DEP_2)
	v_cmp_ne_u32_e64 s13, 0, v2
	v_and_b32_e32 v2, 16, v30
	s_and_b32 s28, s13, vcc_lo
	s_delay_alu instid0(SALU_CYCLE_1)
	s_and_saveexec_b32 s13, s28
	s_cbranch_execz .LBB6_194
; %bb.193:                              ;   in Loop: Header=BB6_59 Depth=2
	v_mov_b32_e32 v2, 1
	s_waitcnt lgkmcnt(0)
	s_waitcnt_vscnt null, 0x0
	buffer_gl1_inv
	buffer_gl0_inv
.LBB6_194:                              ;   in Loop: Header=BB6_59 Depth=2
	s_or_b32 exec_lo, exec_lo, s13
	s_mov_b32 s13, s20
.LBB6_195:                              ;   in Loop: Header=BB6_59 Depth=2
	s_and_not1_saveexec_b32 s6, s6
	s_cbranch_execz .LBB6_217
; %bb.196:                              ;   in Loop: Header=BB6_59 Depth=2
	s_mov_b32 s36, s4
	s_and_saveexec_b32 s20, s4
	s_delay_alu instid0(SALU_CYCLE_1)
	s_xor_b32 s4, exec_lo, s20
	s_cbranch_execz .LBB6_214
; %bb.197:                              ;   in Loop: Header=BB6_59 Depth=2
	s_and_saveexec_b32 s20, s1
	s_cbranch_execz .LBB6_213
; %bb.198:                              ;   in Loop: Header=BB6_59 Depth=2
	s_mov_b32 s37, exec_lo
	s_mov_b32 s28, exec_lo
	v_mbcnt_lo_u32_b32 v2, s37, 0
	;;#ASMSTART
	s_waitcnt lgkmcnt(0) vmcnt(0)
	;;#ASMEND
	s_delay_alu instid0(VALU_DEP_1)
	v_cmpx_eq_u32_e32 0, v2
	s_cbranch_execz .LBB6_200
; %bb.199:                              ;   in Loop: Header=BB6_59 Depth=2
	s_bcnt1_i32_b32 vcc_lo, s37
	s_delay_alu instid0(SALU_CYCLE_1)
	v_mov_b32_e32 v2, vcc_lo
	ds_add_u64 v0, v[2:3]
	s_cbranch_execnz .LBB6_1602
.LBB6_200:                              ;   in Loop: Header=BB6_59 Depth=2
	s_or_b32 exec_lo, exec_lo, s28
	s_cbranch_execnz .LBB6_1576
; %bb.201:                              ;   in Loop: Header=BB6_59 Depth=2
	ds_load_b64 v[52:53], v0
	v_add_co_u32 v12, vcc_lo, v12, v83
	v_add_co_ci_u32_e32 v13, vcc_lo, 0, v13, vcc_lo
	s_mov_b32 s28, exec_lo
	s_waitcnt lgkmcnt(0)
	s_delay_alu instid0(VALU_DEP_1)
	v_cmpx_lt_u64_e64 v[52:53], v[12:13]
	s_cbranch_execz .LBB6_212
; %bb.202:                              ;   in Loop: Header=BB6_59 Depth=2
	s_mov_b32 s37, 0
	s_mov_b32 s40, 0
                                        ; implicit-def: $sgpr38
                                        ; implicit-def: $sgpr39
	s_branch .LBB6_204
.LBB6_203:                              ;   in Loop: Header=BB6_204 Depth=3
	s_or_b32 exec_lo, exec_lo, s42
	s_delay_alu instid0(SALU_CYCLE_1) | instskip(NEXT) | instid1(SALU_CYCLE_1)
	s_and_b32 vcc_lo, exec_lo, vcc_lo
	s_or_b32 s37, vcc_lo, s37
	s_and_not1_b32 vcc_lo, s38, exec_lo
	s_and_b32 s38, s39, exec_lo
	s_delay_alu instid0(SALU_CYCLE_1)
	s_or_b32 s38, vcc_lo, s38
	s_and_not1_b32 exec_lo, exec_lo, s37
	s_cbranch_execz .LBB6_210
.LBB6_204:                              ;   Parent Loop BB6_51 Depth=1
                                        ;     Parent Loop BB6_59 Depth=2
                                        ; =>    This Inner Loop Header: Depth=3
	s_add_i32 s40, s40, 1
                                        ; implicit-def: $sgpr42
	s_delay_alu instid0(SALU_CYCLE_1) | instskip(SKIP_1) | instid1(SALU_CYCLE_1)
	s_cmpk_lg_i32 s40, 0x2710
	s_cselect_b32 s41, -1, 0
	s_and_b32 vcc_lo, exec_lo, s41
	s_cbranch_vccz .LBB6_208
.LBB6_205:                              ;   in Loop: Header=BB6_204 Depth=3
	s_and_not1_b32 s39, s39, exec_lo
	s_and_b32 s42, s42, exec_lo
	s_mov_b32 vcc_lo, -1
	s_or_b32 s39, s39, s42
	s_and_saveexec_b32 s42, s41
	s_cbranch_execz .LBB6_203
; %bb.206:                              ;   in Loop: Header=BB6_204 Depth=3
	s_sleep 1
	s_cbranch_execnz .LBB6_1650
; %bb.207:                              ;   in Loop: Header=BB6_204 Depth=3
	ds_load_b64 v[52:53], v0
	s_and_not1_b32 s39, s39, exec_lo
	s_waitcnt lgkmcnt(0)
	v_cmp_ge_u64_e32 vcc_lo, v[52:53], v[12:13]
	s_or_not1_b32 vcc_lo, vcc_lo, exec_lo
	s_branch .LBB6_203
.LBB6_208:                              ;   in Loop: Header=BB6_204 Depth=3
	s_cbranch_execnz .LBB6_1668
; %bb.209:                              ;   in Loop: Header=BB6_204 Depth=3
	ds_load_b64 v[52:53], v0
	s_and_not1_b32 s41, s41, exec_lo
	s_mov_b32 s40, 0
	s_mov_b32 s42, -1
	s_waitcnt lgkmcnt(0)
	s_waitcnt_vscnt null, 0x0
	flat_load_b32 v2, v[52:53] glc
	s_waitcnt vmcnt(0) lgkmcnt(0)
	buffer_gl1_inv
	buffer_gl0_inv
	v_cmp_eq_u32_e32 vcc_lo, 0, v2
	s_and_b32 vcc_lo, vcc_lo, exec_lo
	s_delay_alu instid0(SALU_CYCLE_1)
	s_or_b32 s41, s41, vcc_lo
	s_branch .LBB6_205
.LBB6_210:                              ;   in Loop: Header=BB6_59 Depth=2
	s_or_b32 exec_lo, exec_lo, s37
	s_and_saveexec_b32 vcc_lo, s38
	s_delay_alu instid0(SALU_CYCLE_1)
	s_xor_b32 vcc_lo, exec_lo, vcc_lo
	s_cbranch_execz .LBB6_212
; %bb.211:                              ;   in Loop: Header=BB6_59 Depth=2
	ds_store_b32 v0, v130
	s_cbranch_execnz .LBB6_1874
.LBB6_212:                              ;   in Loop: Header=BB6_59 Depth=2
	s_or_b32 exec_lo, exec_lo, s28
	;;#ASMSTART
	s_wakeup
	;;#ASMEND
.LBB6_213:                              ;   in Loop: Header=BB6_59 Depth=2
	s_or_b32 exec_lo, exec_lo, s20
.LBB6_214:                              ;   in Loop: Header=BB6_59 Depth=2
	s_and_not1_saveexec_b32 s4, s4
	s_cbranch_execz .LBB6_216
; %bb.215:                              ;   in Loop: Header=BB6_59 Depth=2
	;;#ASMSTART
	s_waitcnt lgkmcnt(0) vmcnt(0)
	;;#ASMEND
	s_waitcnt lgkmcnt(0)
	s_waitcnt_vscnt null, 0x0
	s_barrier
.LBB6_216:                              ;   in Loop: Header=BB6_59 Depth=2
	s_or_b32 exec_lo, exec_lo, s4
	v_and_b32_e32 v2, 16, v30
	s_mov_b32 s4, s36
.LBB6_217:                              ;   in Loop: Header=BB6_59 Depth=2
	s_or_b32 exec_lo, exec_lo, s6
	s_delay_alu instid0(SALU_CYCLE_1) | instskip(NEXT) | instid1(VALU_DEP_1)
	s_mov_b32 s6, exec_lo
	v_cmpx_ne_u32_e32 0, v2
	s_cbranch_execz .LBB6_221
; %bb.218:                              ;   in Loop: Header=BB6_59 Depth=2
	s_and_saveexec_b32 s20, s11
	s_cbranch_execz .LBB6_220
; %bb.219:                              ;   in Loop: Header=BB6_59 Depth=2
	s_waitcnt lgkmcnt(0)
	s_waitcnt_vscnt null, 0x0
	flat_store_b32 v[26:27], v130
.LBB6_220:                              ;   in Loop: Header=BB6_59 Depth=2
	s_or_b32 exec_lo, exec_lo, s20
	v_add_co_u32 v22, vcc_lo, v22, 2
	v_add_co_ci_u32_e32 v23, vcc_lo, 0, v23, vcc_lo
	s_waitcnt lgkmcnt(0)
	s_waitcnt_vscnt null, 0x0
	flat_store_b64 v[20:21], v[22:23]
.LBB6_221:                              ;   in Loop: Header=BB6_59 Depth=2
	s_or_b32 exec_lo, exec_lo, s6
	v_add_nc_u32_e32 v10, v8, v10
	s_xor_b32 s6, s17, -1
	v_mov_b32_e32 v2, s30
	s_mov_b32 s17, 0
	s_mov_b32 s30, 2
	v_cmp_ge_i32_e32 vcc_lo, v10, v66
	s_or_b32 s6, s6, vcc_lo
	s_delay_alu instid0(SALU_CYCLE_1) | instskip(NEXT) | instid1(SALU_CYCLE_1)
	s_and_b32 s6, exec_lo, s6
	s_or_b32 s16, s6, s16
	s_delay_alu instid0(SALU_CYCLE_1)
	s_and_not1_b32 exec_lo, exec_lo, s16
	s_cbranch_execnz .LBB6_59
; %bb.222:                              ;   in Loop: Header=BB6_51 Depth=1
	s_or_b32 exec_lo, exec_lo, s16
.LBB6_223:                              ;   in Loop: Header=BB6_51 Depth=1
	s_delay_alu instid0(SALU_CYCLE_1) | instskip(NEXT) | instid1(SALU_CYCLE_1)
	s_or_b32 exec_lo, exec_lo, s15
	s_mov_b32 s15, exec_lo
	v_cmpx_gt_i32_e32 2, v2
	s_cbranch_execz .LBB6_306
; %bb.224:                              ;   in Loop: Header=BB6_51 Depth=1
	v_cmp_eq_u32_e64 s6, 0, v2
	s_mov_b32 s16, 0
.LBB6_225:                              ;   Parent Loop BB6_51 Depth=1
                                        ; =>  This Loop Header: Depth=2
                                        ;       Child Loop BB6_231 Depth 3
                                        ;       Child Loop BB6_260 Depth 3
	;; [unrolled: 1-line block ×3, first 2 shown]
	v_and_b32_e32 v2, 8, v30
	s_mov_b32 s20, -1
	s_mov_b32 s17, exec_lo
	s_delay_alu instid0(VALU_DEP_1)
	v_cmpx_ne_u32_e32 0, v2
	s_cbranch_execz .LBB6_239
; %bb.226:                              ;   in Loop: Header=BB6_225 Depth=2
	v_add_co_u32 v52, vcc_lo, v28, 8
	v_add_co_ci_u32_e32 v53, vcc_lo, 0, v29, vcc_lo
	v_add_co_u32 v50, vcc_lo, v22, 2
	v_add_co_ci_u32_e32 v51, vcc_lo, 0, v23, vcc_lo
	v_mov_b32_e32 v2, 1
	s_mov_b32 s20, exec_lo
	s_delay_alu instid0(VALU_DEP_2)
	v_cmpx_lt_u64_e64 v[52:53], v[50:51]
	s_cbranch_execz .LBB6_238
; %bb.227:                              ;   in Loop: Header=BB6_225 Depth=2
	v_mov_b32_e32 v2, 0
	s_mov_b32 s28, 0
                                        ; implicit-def: $sgpr30
	s_branch .LBB6_231
.LBB6_228:                              ;   in Loop: Header=BB6_231 Depth=3
	s_or_b32 exec_lo, exec_lo, s39
	v_mov_b32_e32 v9, 0
	s_or_not1_b32 s38, s38, exec_lo
.LBB6_229:                              ;   in Loop: Header=BB6_231 Depth=3
	s_or_b32 exec_lo, exec_lo, s37
	s_delay_alu instid0(VALU_DEP_1) | instskip(SKIP_2) | instid1(SALU_CYCLE_1)
	v_mov_b32_e32 v2, v9
	s_and_not1_b32 vcc_lo, s30, exec_lo
	s_and_b32 s30, s38, exec_lo
	s_or_b32 s30, vcc_lo, s30
.LBB6_230:                              ;   in Loop: Header=BB6_231 Depth=3
	s_or_b32 exec_lo, exec_lo, s36
	s_waitcnt vmcnt(0) lgkmcnt(0)
	v_add_co_u32 v52, vcc_lo, v28, 8
	v_add_co_ci_u32_e32 v53, vcc_lo, 0, v29, vcc_lo
	s_xor_b32 s36, s30, -1
	s_delay_alu instid0(VALU_DEP_1) | instskip(SKIP_1) | instid1(SALU_CYCLE_1)
	v_cmp_ge_u64_e32 vcc_lo, v[52:53], v[50:51]
	s_or_b32 vcc_lo, s36, vcc_lo
	s_and_b32 vcc_lo, exec_lo, vcc_lo
	s_delay_alu instid0(SALU_CYCLE_1) | instskip(NEXT) | instid1(SALU_CYCLE_1)
	s_or_b32 s28, vcc_lo, s28
	s_and_not1_b32 exec_lo, exec_lo, s28
	s_cbranch_execz .LBB6_237
.LBB6_231:                              ;   Parent Loop BB6_51 Depth=1
                                        ;     Parent Loop BB6_225 Depth=2
                                        ; =>    This Inner Loop Header: Depth=3
	s_sleep 1
	flat_load_b64 v[28:29], v[20:21] glc
	v_and_b32_e32 v9, 64, v30
	s_and_not1_b32 s30, s30, exec_lo
	s_mov_b32 s36, exec_lo
	s_delay_alu instid0(VALU_DEP_1)
	v_cmpx_eq_u32_e32 0, v9
	s_cbranch_execz .LBB6_230
; %bb.232:                              ;   in Loop: Header=BB6_231 Depth=3
	v_add_nc_u32_e32 v9, 1, v2
	s_mov_b32 s38, -1
	s_mov_b32 s37, exec_lo
	v_cmpx_lt_i32_e32 0x270e, v2
	s_cbranch_execz .LBB6_229
; %bb.233:                              ;   in Loop: Header=BB6_231 Depth=3
	s_cbranch_execnz .LBB6_1475
; %bb.234:                              ;   in Loop: Header=BB6_231 Depth=3
	ds_load_b64 v[52:53], v0
	s_mov_b32 s39, exec_lo
	s_waitcnt vmcnt(0) lgkmcnt(0)
	s_waitcnt_vscnt null, 0x0
	flat_load_b32 v2, v[52:53] glc
	s_waitcnt vmcnt(0) lgkmcnt(0)
	buffer_gl1_inv
	buffer_gl0_inv
	v_cmpx_ne_u32_e32 0, v2
	s_cbranch_execz .LBB6_228
; %bb.235:                              ;   in Loop: Header=BB6_231 Depth=3
	ds_store_b32 v0, v2
	s_cbranch_execnz .LBB6_1487
; %bb.236:                              ;   in Loop: Header=BB6_231 Depth=3
	v_or_b32_e32 v30, 64, v30
	s_xor_b32 s38, exec_lo, -1
	s_branch .LBB6_228
.LBB6_237:                              ;   in Loop: Header=BB6_225 Depth=2
	s_or_b32 exec_lo, exec_lo, s28
	v_and_b32_e32 v2, 8, v30
.LBB6_238:                              ;   in Loop: Header=BB6_225 Depth=2
	s_or_b32 exec_lo, exec_lo, s20
	s_delay_alu instid0(VALU_DEP_1)
	v_cmp_eq_u32_e32 vcc_lo, 0, v2
	;;#ASMSTART
	s_wakeup
	;;#ASMEND
	s_or_not1_b32 s20, vcc_lo, exec_lo
.LBB6_239:                              ;   in Loop: Header=BB6_225 Depth=2
	s_or_b32 exec_lo, exec_lo, s17
	v_sub_nc_u32_e32 v2, v66, v10
	s_xor_b32 s6, s6, -1
	s_delay_alu instid0(SALU_CYCLE_1) | instskip(NEXT) | instid1(SALU_CYCLE_1)
	s_and_b32 s6, exec_lo, s6
	s_or_b32 s16, s6, s16
	s_delay_alu instid0(VALU_DEP_1) | instskip(SKIP_1) | instid1(SALU_CYCLE_1)
	v_min_i32_e32 v8, v8, v2
	s_xor_b32 s17, s20, -1
	s_and_saveexec_b32 s6, s17
	s_cbranch_execz .LBB6_247
; %bb.240:                              ;   in Loop: Header=BB6_225 Depth=2
	v_and_b32_e32 v2, 0x100, v30
	s_mov_b32 s20, 0
	s_mov_b32 s17, exec_lo
                                        ; implicit-def: $vgpr52_vgpr53
	s_delay_alu instid0(VALU_DEP_1)
	v_cmpx_ne_u32_e32 0, v2
	s_xor_b32 s17, exec_lo, s17
                                        ; implicit-def: $vgpr50_vgpr51
	s_cbranch_execnz .LBB6_255
; %bb.241:                              ;   in Loop: Header=BB6_225 Depth=2
	s_and_not1_saveexec_b32 s17, s17
	s_cbranch_execnz .LBB6_258
.LBB6_242:                              ;   in Loop: Header=BB6_225 Depth=2
	s_or_b32 exec_lo, exec_lo, s17
	s_and_saveexec_b32 s17, s20
.LBB6_243:                              ;   in Loop: Header=BB6_225 Depth=2
	v_mul_lo_u32 v2, v3, v81
	v_mul_lo_u32 v9, v50, v82
	v_mad_u64_u32 v[52:53], null, v50, v81, 0
	s_delay_alu instid0(VALU_DEP_1)
	v_add3_u32 v53, v53, v9, v2
.LBB6_244:                              ;   in Loop: Header=BB6_225 Depth=2
	s_or_b32 exec_lo, exec_lo, s17
	s_delay_alu instid0(VALU_DEP_1) | instskip(SKIP_2) | instid1(VALU_DEP_2)
	v_lshlrev_b64 v[50:51], 3, v[52:53]
	v_and_b32_e32 v2, 0x2000, v30
	s_mov_b32 s17, exec_lo
	v_add_co_u32 v50, vcc_lo, v24, v50
	s_delay_alu instid0(VALU_DEP_3)
	v_add_co_ci_u32_e32 v51, vcc_lo, v25, v51, vcc_lo
	ds_store_b64 v0, v[50:51] offset:784
	v_cmpx_ne_u32_e32 0, v2
	s_cbranch_execz .LBB6_246
; %bb.245:                              ;   in Loop: Header=BB6_225 Depth=2
	ds_load_b64 v[50:51], v0 offset:584
	s_waitcnt lgkmcnt(0)
	v_add_co_u32 v50, vcc_lo, v50, 1
	v_add_co_ci_u32_e32 v51, vcc_lo, 0, v51, vcc_lo
	ds_store_b64 v0, v[50:51] offset:584
.LBB6_246:                              ;   in Loop: Header=BB6_225 Depth=2
	s_or_b32 exec_lo, exec_lo, s17
	v_add_co_u32 v22, vcc_lo, v22, 2
	v_add_co_ci_u32_e32 v23, vcc_lo, 0, v23, vcc_lo
.LBB6_247:                              ;   in Loop: Header=BB6_225 Depth=2
	s_or_b32 exec_lo, exec_lo, s6
	s_and_saveexec_b32 s6, s3
	s_cbranch_execz .LBB6_273
; %bb.248:                              ;   in Loop: Header=BB6_225 Depth=2
	s_and_saveexec_b32 s17, s4
	s_delay_alu instid0(SALU_CYCLE_1)
	s_xor_b32 s17, exec_lo, s17
	s_cbranch_execz .LBB6_270
; %bb.249:                              ;   in Loop: Header=BB6_225 Depth=2
	s_and_saveexec_b32 s20, s1
	s_cbranch_execz .LBB6_269
; %bb.250:                              ;   in Loop: Header=BB6_225 Depth=2
	s_mov_b32 s28, exec_lo
	s_mov_b32 s36, exec_lo
	v_mbcnt_lo_u32_b32 v2, s28, 0
	s_waitcnt lgkmcnt(0)
	s_waitcnt_vscnt null, 0x0
	buffer_gl1_inv
	buffer_gl0_inv
	v_cmpx_eq_u32_e32 0, v2
	s_cbranch_execz .LBB6_252
; %bb.251:                              ;   in Loop: Header=BB6_225 Depth=2
	s_bcnt1_i32_b32 s28, s28
	s_delay_alu instid0(SALU_CYCLE_1)
	v_mov_b32_e32 v2, s28
	ds_add_u64 v0, v[2:3]
	s_cbranch_execnz .LBB6_1518
.LBB6_252:                              ;   in Loop: Header=BB6_225 Depth=2
	s_mov_b32 s30, s31
	s_or_b32 exec_lo, exec_lo, s36
	s_cbranch_execnz .LBB6_1500
; %bb.253:                              ;   in Loop: Header=BB6_225 Depth=2
	ds_load_b64 v[50:51], v0
	v_add_co_u32 v12, vcc_lo, v12, v83
	v_add_co_ci_u32_e32 v13, vcc_lo, 0, v13, vcc_lo
	s_mov_b32 s28, s29
	s_mov_b32 s29, s34
	s_mov_b32 s31, exec_lo
	s_waitcnt lgkmcnt(0)
	v_cmpx_lt_u64_e64 v[50:51], v[12:13]
	s_cbranch_execz .LBB6_268
; %bb.254:                              ;   in Loop: Header=BB6_225 Depth=2
	s_mov_b32 s34, 0
	s_mov_b32 s38, 0
                                        ; implicit-def: $sgpr36
                                        ; implicit-def: $sgpr37
	s_branch .LBB6_260
.LBB6_255:                              ;   in Loop: Header=BB6_225 Depth=2
	v_and_b32_e32 v50, 7, v22
	v_ashrrev_i32_e32 v9, 31, v8
	s_mov_b32 s20, -1
	s_mov_b32 s28, exec_lo
	s_delay_alu instid0(VALU_DEP_2) | instskip(NEXT) | instid1(VALU_DEP_2)
	v_mad_u64_u32 v[54:55], null, v50, 24, v[6:7]
	v_lshlrev_b64 v[51:52], 3, v[8:9]
	flat_load_b32 v2, v[54:55]
	flat_store_b64 v[54:55], v[51:52] offset:8
                                        ; implicit-def: $vgpr52_vgpr53
	s_waitcnt vmcnt(0) lgkmcnt(1)
	v_cmpx_eq_u32_e32 1, v2
	s_cbranch_execz .LBB6_257
; %bb.256:                              ;   in Loop: Header=BB6_225 Depth=2
	flat_load_b32 v50, v[54:55] offset:4 glc
	s_xor_b32 s20, exec_lo, -1
	s_waitcnt vmcnt(0) lgkmcnt(0)
	v_ashrrev_i32_e32 v51, 31, v50
	s_delay_alu instid0(VALU_DEP_1)
	v_lshrrev_b64 v[52:53], 3, v[50:51]
                                        ; implicit-def: $vgpr50_vgpr51
.LBB6_257:                              ;   in Loop: Header=BB6_225 Depth=2
	s_or_b32 exec_lo, exec_lo, s28
	s_delay_alu instid0(SALU_CYCLE_1)
	s_and_b32 s20, s20, exec_lo
	s_and_not1_saveexec_b32 s17, s17
	s_cbranch_execz .LBB6_242
.LBB6_258:                              ;   in Loop: Header=BB6_225 Depth=2
	v_and_b32_e32 v50, 7, v22
	s_or_b32 s20, s20, exec_lo
                                        ; implicit-def: $vgpr52_vgpr53
	s_or_b32 exec_lo, exec_lo, s17
	s_and_saveexec_b32 s17, s20
	s_cbranch_execnz .LBB6_243
	s_branch .LBB6_244
.LBB6_259:                              ;   in Loop: Header=BB6_260 Depth=3
	s_or_b32 exec_lo, exec_lo, s40
	s_delay_alu instid0(SALU_CYCLE_1) | instskip(NEXT) | instid1(SALU_CYCLE_1)
	s_and_b32 vcc_lo, exec_lo, vcc_lo
	s_or_b32 s34, vcc_lo, s34
	s_and_not1_b32 vcc_lo, s36, exec_lo
	s_and_b32 s36, s37, exec_lo
	s_delay_alu instid0(SALU_CYCLE_1)
	s_or_b32 s36, vcc_lo, s36
	s_and_not1_b32 exec_lo, exec_lo, s34
	s_cbranch_execz .LBB6_266
.LBB6_260:                              ;   Parent Loop BB6_51 Depth=1
                                        ;     Parent Loop BB6_225 Depth=2
                                        ; =>    This Inner Loop Header: Depth=3
	s_add_i32 s38, s38, 1
                                        ; implicit-def: $sgpr40
	s_delay_alu instid0(SALU_CYCLE_1) | instskip(SKIP_1) | instid1(SALU_CYCLE_1)
	s_cmpk_lg_i32 s38, 0x2710
	s_cselect_b32 s39, -1, 0
	s_and_b32 vcc_lo, exec_lo, s39
	s_cbranch_vccz .LBB6_264
.LBB6_261:                              ;   in Loop: Header=BB6_260 Depth=3
	s_and_not1_b32 s37, s37, exec_lo
	s_and_b32 s40, s40, exec_lo
	s_mov_b32 vcc_lo, -1
	s_or_b32 s37, s37, s40
	s_and_saveexec_b32 s40, s39
	s_cbranch_execz .LBB6_259
; %bb.262:                              ;   in Loop: Header=BB6_260 Depth=3
	s_sleep 1
	s_cbranch_execnz .LBB6_1548
; %bb.263:                              ;   in Loop: Header=BB6_260 Depth=3
	ds_load_b64 v[50:51], v0
	s_and_not1_b32 s37, s37, exec_lo
	s_waitcnt lgkmcnt(0)
	v_cmp_ge_u64_e32 vcc_lo, v[50:51], v[12:13]
	s_or_not1_b32 vcc_lo, vcc_lo, exec_lo
	s_branch .LBB6_259
.LBB6_264:                              ;   in Loop: Header=BB6_260 Depth=3
	s_cbranch_execnz .LBB6_1554
; %bb.265:                              ;   in Loop: Header=BB6_260 Depth=3
	ds_load_b64 v[50:51], v0
	s_and_not1_b32 s39, s39, exec_lo
	s_mov_b32 s38, 0
	s_mov_b32 s40, -1
	s_waitcnt lgkmcnt(0)
	flat_load_b32 v2, v[50:51] glc
	s_waitcnt vmcnt(0) lgkmcnt(0)
	buffer_gl1_inv
	buffer_gl0_inv
	v_cmp_eq_u32_e32 vcc_lo, 0, v2
	s_and_b32 vcc_lo, vcc_lo, exec_lo
	s_delay_alu instid0(SALU_CYCLE_1)
	s_or_b32 s39, s39, vcc_lo
	s_branch .LBB6_261
.LBB6_266:                              ;   in Loop: Header=BB6_225 Depth=2
	s_or_b32 exec_lo, exec_lo, s34
	s_and_saveexec_b32 vcc_lo, s36
	s_delay_alu instid0(SALU_CYCLE_1)
	s_xor_b32 vcc_lo, exec_lo, vcc_lo
	s_cbranch_execz .LBB6_268
; %bb.267:                              ;   in Loop: Header=BB6_225 Depth=2
	ds_store_b32 v0, v130
	s_cbranch_execnz .LBB6_1764
.LBB6_268:                              ;   in Loop: Header=BB6_225 Depth=2
	s_or_b32 exec_lo, exec_lo, s31
	s_mov_b32 s31, s30
	s_mov_b32 s34, s29
	;; [unrolled: 1-line block ×3, first 2 shown]
	;;#ASMSTART
	s_wakeup
	;;#ASMEND
.LBB6_269:                              ;   in Loop: Header=BB6_225 Depth=2
	s_or_b32 exec_lo, exec_lo, s20
.LBB6_270:                              ;   in Loop: Header=BB6_225 Depth=2
	s_and_not1_saveexec_b32 s17, s17
	s_cbranch_execz .LBB6_272
; %bb.271:                              ;   in Loop: Header=BB6_225 Depth=2
	s_waitcnt lgkmcnt(0)
	s_waitcnt_vscnt null, 0x0
	buffer_gl1_inv
	buffer_gl0_inv
	s_barrier
.LBB6_272:                              ;   in Loop: Header=BB6_225 Depth=2
	s_or_b32 exec_lo, exec_lo, s17
.LBB6_273:                              ;   in Loop: Header=BB6_225 Depth=2
	s_delay_alu instid0(SALU_CYCLE_1) | instskip(SKIP_1) | instid1(SALU_CYCLE_1)
	s_or_b32 exec_lo, exec_lo, s6
                                        ; implicit-def: $vgpr2
	s_and_saveexec_b32 s6, s7
	s_xor_b32 s6, exec_lo, s6
	s_cbranch_execz .LBB6_278
; %bb.274:                              ;   in Loop: Header=BB6_225 Depth=2
	s_cbranch_execnz .LBB6_1473
; %bb.275:                              ;   in Loop: Header=BB6_225 Depth=2
	ds_load_b32 v2, v0
	s_mov_b32 s17, s13
	v_cmp_lt_i32_e32 vcc_lo, 0, v8
	s_waitcnt lgkmcnt(0)
	v_readfirstlane_b32 s13, v2
	v_and_b32_e32 v2, 16, v30
	s_delay_alu instid0(VALU_DEP_2) | instskip(NEXT) | instid1(VALU_DEP_1)
	s_cmp_eq_u32 s13, 0
	v_cmp_ne_u32_e64 s13, 0, v2
	s_cselect_b32 s20, -1, 0
	v_and_b32_e32 v2, 16, v30
	s_and_b32 s20, vcc_lo, s20
	s_delay_alu instid0(VALU_DEP_2) | instid1(SALU_CYCLE_1)
	s_and_b32 s20, s13, s20
	s_delay_alu instid0(SALU_CYCLE_1)
	s_and_saveexec_b32 s13, s20
	s_cbranch_execz .LBB6_277
; %bb.276:                              ;   in Loop: Header=BB6_225 Depth=2
	v_mov_b32_e32 v2, 1
	s_waitcnt_vscnt null, 0x0
	buffer_gl1_inv
	buffer_gl0_inv
.LBB6_277:                              ;   in Loop: Header=BB6_225 Depth=2
	s_or_b32 exec_lo, exec_lo, s13
	s_mov_b32 s13, s17
.LBB6_278:                              ;   in Loop: Header=BB6_225 Depth=2
	s_and_not1_saveexec_b32 s6, s6
	s_cbranch_execz .LBB6_300
; %bb.279:                              ;   in Loop: Header=BB6_225 Depth=2
	s_and_saveexec_b32 s17, s4
	s_delay_alu instid0(SALU_CYCLE_1)
	s_xor_b32 s17, exec_lo, s17
	s_cbranch_execz .LBB6_297
; %bb.280:                              ;   in Loop: Header=BB6_225 Depth=2
	s_and_saveexec_b32 s20, s1
	s_cbranch_execz .LBB6_296
; %bb.281:                              ;   in Loop: Header=BB6_225 Depth=2
	s_mov_b32 s28, s29
	s_mov_b32 s29, s34
	s_mov_b32 s34, exec_lo
	s_mov_b32 s30, s31
	v_mbcnt_lo_u32_b32 v2, s34, 0
	s_mov_b32 s31, exec_lo
	;;#ASMSTART
	s_waitcnt lgkmcnt(0) vmcnt(0)
	;;#ASMEND
	s_delay_alu instid0(VALU_DEP_1)
	v_cmpx_eq_u32_e32 0, v2
	s_cbranch_execz .LBB6_283
; %bb.282:                              ;   in Loop: Header=BB6_225 Depth=2
	s_bcnt1_i32_b32 vcc_lo, s34
	s_delay_alu instid0(SALU_CYCLE_1)
	v_mov_b32_e32 v2, vcc_lo
	ds_add_u64 v0, v[2:3]
	s_cbranch_execnz .LBB6_1536
.LBB6_283:                              ;   in Loop: Header=BB6_225 Depth=2
	s_or_b32 exec_lo, exec_lo, s31
	s_cbranch_execnz .LBB6_1514
; %bb.284:                              ;   in Loop: Header=BB6_225 Depth=2
	ds_load_b64 v[50:51], v0
	v_add_co_u32 v12, vcc_lo, v12, v83
	v_add_co_ci_u32_e32 v13, vcc_lo, 0, v13, vcc_lo
	s_mov_b32 s31, exec_lo
	s_waitcnt lgkmcnt(0)
	s_delay_alu instid0(VALU_DEP_1)
	v_cmpx_lt_u64_e64 v[50:51], v[12:13]
	s_cbranch_execz .LBB6_295
; %bb.285:                              ;   in Loop: Header=BB6_225 Depth=2
	s_mov_b32 s34, 0
	s_mov_b32 s38, 0
                                        ; implicit-def: $sgpr36
                                        ; implicit-def: $sgpr37
	s_branch .LBB6_287
.LBB6_286:                              ;   in Loop: Header=BB6_287 Depth=3
	s_or_b32 exec_lo, exec_lo, s40
	s_delay_alu instid0(SALU_CYCLE_1) | instskip(NEXT) | instid1(SALU_CYCLE_1)
	s_and_b32 vcc_lo, exec_lo, vcc_lo
	s_or_b32 s34, vcc_lo, s34
	s_and_not1_b32 vcc_lo, s36, exec_lo
	s_and_b32 s36, s37, exec_lo
	s_delay_alu instid0(SALU_CYCLE_1)
	s_or_b32 s36, vcc_lo, s36
	s_and_not1_b32 exec_lo, exec_lo, s34
	s_cbranch_execz .LBB6_293
.LBB6_287:                              ;   Parent Loop BB6_51 Depth=1
                                        ;     Parent Loop BB6_225 Depth=2
                                        ; =>    This Inner Loop Header: Depth=3
	s_add_i32 s38, s38, 1
                                        ; implicit-def: $sgpr40
	s_delay_alu instid0(SALU_CYCLE_1) | instskip(SKIP_1) | instid1(SALU_CYCLE_1)
	s_cmpk_lg_i32 s38, 0x2710
	s_cselect_b32 s39, -1, 0
	s_and_b32 vcc_lo, exec_lo, s39
	s_cbranch_vccz .LBB6_291
.LBB6_288:                              ;   in Loop: Header=BB6_287 Depth=3
	s_and_not1_b32 s37, s37, exec_lo
	s_and_b32 s40, s40, exec_lo
	s_mov_b32 vcc_lo, -1
	s_or_b32 s37, s37, s40
	s_and_saveexec_b32 s40, s39
	s_cbranch_execz .LBB6_286
; %bb.289:                              ;   in Loop: Header=BB6_287 Depth=3
	s_sleep 1
	s_cbranch_execnz .LBB6_1560
; %bb.290:                              ;   in Loop: Header=BB6_287 Depth=3
	ds_load_b64 v[50:51], v0
	s_and_not1_b32 s37, s37, exec_lo
	s_waitcnt lgkmcnt(0)
	v_cmp_ge_u64_e32 vcc_lo, v[50:51], v[12:13]
	s_or_not1_b32 vcc_lo, vcc_lo, exec_lo
	s_branch .LBB6_286
.LBB6_291:                              ;   in Loop: Header=BB6_287 Depth=3
	s_cbranch_execnz .LBB6_1572
; %bb.292:                              ;   in Loop: Header=BB6_287 Depth=3
	ds_load_b64 v[50:51], v0
	s_and_not1_b32 s39, s39, exec_lo
	s_mov_b32 s38, 0
	s_mov_b32 s40, -1
	s_waitcnt lgkmcnt(0)
	s_waitcnt_vscnt null, 0x0
	flat_load_b32 v2, v[50:51] glc
	s_waitcnt vmcnt(0) lgkmcnt(0)
	buffer_gl1_inv
	buffer_gl0_inv
	v_cmp_eq_u32_e32 vcc_lo, 0, v2
	s_and_b32 vcc_lo, vcc_lo, exec_lo
	s_delay_alu instid0(SALU_CYCLE_1)
	s_or_b32 s39, s39, vcc_lo
	s_branch .LBB6_288
.LBB6_293:                              ;   in Loop: Header=BB6_225 Depth=2
	s_or_b32 exec_lo, exec_lo, s34
	s_and_saveexec_b32 vcc_lo, s36
	s_delay_alu instid0(SALU_CYCLE_1)
	s_xor_b32 vcc_lo, exec_lo, vcc_lo
	s_cbranch_execz .LBB6_295
; %bb.294:                              ;   in Loop: Header=BB6_225 Depth=2
	ds_store_b32 v0, v130
	s_cbranch_execnz .LBB6_1784
.LBB6_295:                              ;   in Loop: Header=BB6_225 Depth=2
	s_or_b32 exec_lo, exec_lo, s31
	s_mov_b32 s31, s30
	s_mov_b32 s34, s29
	;; [unrolled: 1-line block ×3, first 2 shown]
	;;#ASMSTART
	s_wakeup
	;;#ASMEND
.LBB6_296:                              ;   in Loop: Header=BB6_225 Depth=2
	s_or_b32 exec_lo, exec_lo, s20
.LBB6_297:                              ;   in Loop: Header=BB6_225 Depth=2
	s_and_not1_saveexec_b32 s17, s17
	s_cbranch_execz .LBB6_299
; %bb.298:                              ;   in Loop: Header=BB6_225 Depth=2
	;;#ASMSTART
	s_waitcnt lgkmcnt(0) vmcnt(0)
	;;#ASMEND
	s_waitcnt lgkmcnt(0)
	s_waitcnt_vscnt null, 0x0
	s_barrier
.LBB6_299:                              ;   in Loop: Header=BB6_225 Depth=2
	s_or_b32 exec_lo, exec_lo, s17
	v_and_b32_e32 v2, 16, v30
.LBB6_300:                              ;   in Loop: Header=BB6_225 Depth=2
	s_or_b32 exec_lo, exec_lo, s6
	s_delay_alu instid0(SALU_CYCLE_1) | instskip(NEXT) | instid1(VALU_DEP_1)
	s_mov_b32 s6, exec_lo
	v_cmpx_ne_u32_e32 0, v2
	s_cbranch_execz .LBB6_304
; %bb.301:                              ;   in Loop: Header=BB6_225 Depth=2
	s_and_saveexec_b32 s17, s11
	s_cbranch_execz .LBB6_303
; %bb.302:                              ;   in Loop: Header=BB6_225 Depth=2
	s_waitcnt lgkmcnt(0)
	s_waitcnt_vscnt null, 0x0
	flat_store_b32 v[26:27], v130
.LBB6_303:                              ;   in Loop: Header=BB6_225 Depth=2
	s_or_b32 exec_lo, exec_lo, s17
	v_add_co_u32 v22, vcc_lo, v22, 2
	v_add_co_ci_u32_e32 v23, vcc_lo, 0, v23, vcc_lo
	s_waitcnt lgkmcnt(0)
	s_waitcnt_vscnt null, 0x0
	flat_store_b64 v[20:21], v[22:23]
.LBB6_304:                              ;   in Loop: Header=BB6_225 Depth=2
	s_or_b32 exec_lo, exec_lo, s6
	v_add_nc_u32_e32 v10, v8, v10
	s_mov_b32 s6, 0
	s_and_not1_b32 exec_lo, exec_lo, s16
	s_cbranch_execnz .LBB6_225
; %bb.305:                              ;   in Loop: Header=BB6_51 Depth=1
	s_or_b32 exec_lo, exec_lo, s16
.LBB6_306:                              ;   in Loop: Header=BB6_51 Depth=1
	s_delay_alu instid0(SALU_CYCLE_1) | instskip(NEXT) | instid1(SALU_CYCLE_1)
	s_or_b32 exec_lo, exec_lo, s15
	s_and_not1_b32 vcc_lo, exec_lo, s29
	s_cbranch_vccnz .LBB6_567
; %bb.307:                              ;   in Loop: Header=BB6_51 Depth=1
	v_writelane_b32 v47, s5, 3
	s_mov_b32 s16, 2
	v_writelane_b32 v47, s12, 4
.LBB6_308:                              ;   Parent Loop BB6_51 Depth=1
                                        ; =>  This Loop Header: Depth=2
                                        ;       Child Loop BB6_310 Depth 3
                                        ;         Child Loop BB6_319 Depth 4
                                        ;         Child Loop BB6_351 Depth 4
	;; [unrolled: 1-line block ×9, first 2 shown]
                                        ;       Child Loop BB6_483 Depth 3
                                        ;         Child Loop BB6_489 Depth 4
                                        ;         Child Loop BB6_519 Depth 4
	;; [unrolled: 1-line block ×3, first 2 shown]
	s_sub_i32 s5, s24, s16
	v_mov_b32_e32 v10, 0
	s_cmp_le_i32 s19, s5
	s_mov_b32 s30, 0
	s_cselect_b32 s6, s19, 0
	s_delay_alu instid0(SALU_CYCLE_1) | instskip(NEXT) | instid1(SALU_CYCLE_1)
	s_sub_i32 s5, s5, s6
	s_ashr_i32 s6, s5, 31
	v_mul_lo_u32 v2, v37, s5
	v_mad_u64_u32 v[50:51], null, v36, s5, 0
	v_mul_lo_u32 v8, v36, s6
	s_delay_alu instid0(VALU_DEP_1) | instskip(NEXT) | instid1(VALU_DEP_3)
	v_add3_u32 v51, v51, v8, v2
	v_sub_co_u32 v8, vcc_lo, v38, v50
	s_delay_alu instid0(VALU_DEP_2) | instskip(NEXT) | instid1(VALU_DEP_1)
	v_sub_co_ci_u32_e32 v9, vcc_lo, v39, v51, vcc_lo
	v_cmp_lt_i64_e32 vcc_lo, v[36:37], v[8:9]
	v_cndmask_b32_e32 v8, v8, v36, vcc_lo
	s_delay_alu instid0(VALU_DEP_1) | instskip(NEXT) | instid1(VALU_DEP_1)
	v_max_i32_e32 v66, 0, v8
	v_add_nc_u32_e32 v2, 31, v66
	s_delay_alu instid0(VALU_DEP_1) | instskip(NEXT) | instid1(VALU_DEP_1)
	v_lshrrev_b32_e32 v2, 1, v2
	v_and_b32_e32 v9, 0x3ffffff0, v2
	v_cmp_lt_i32_e32 vcc_lo, 0, v8
	v_mov_b32_e32 v2, 0
	s_delay_alu instid0(VALU_DEP_3) | instskip(SKIP_1) | instid1(SALU_CYCLE_1)
	v_max_i32_e32 v8, s25, v9
	s_and_b32 s5, s34, vcc_lo
	s_and_saveexec_b32 s17, s5
	s_cbranch_execz .LBB6_481
; %bb.309:                              ;   in Loop: Header=BB6_308 Depth=2
	v_lshlrev_b64 v[50:51], 3, v[50:51]
	v_mov_b32_e32 v10, 0
	s_mov_b32 s20, s13
	s_mov_b32 s13, 1
	s_mov_b32 s15, -1
.LBB6_310:                              ;   Parent Loop BB6_51 Depth=1
                                        ;     Parent Loop BB6_308 Depth=2
                                        ; =>    This Loop Header: Depth=3
                                        ;         Child Loop BB6_319 Depth 4
                                        ;         Child Loop BB6_351 Depth 4
	;; [unrolled: 1-line block ×9, first 2 shown]
	s_and_saveexec_b32 s5, s0
	s_cbranch_execz .LBB6_313
; %bb.311:                              ;   in Loop: Header=BB6_310 Depth=3
	s_cbranch_execnz .LBB6_1483
; %bb.312:                              ;   in Loop: Header=BB6_310 Depth=3
	ds_load_b64 v[52:53], v0
	v_lshlrev_b64 v[54:55], 3, v[48:49]
	v_ashrrev_i32_e32 v11, 31, v10
	s_waitcnt lgkmcnt(0)
	s_delay_alu instid0(VALU_DEP_2) | instskip(NEXT) | instid1(VALU_DEP_3)
	v_add_co_u32 v2, vcc_lo, v52, v54
	v_add_co_ci_u32_e32 v9, vcc_lo, v53, v55, vcc_lo
	s_delay_alu instid0(VALU_DEP_3) | instskip(NEXT) | instid1(VALU_DEP_3)
	v_lshlrev_b64 v[52:53], 3, v[10:11]
	v_add_co_u32 v2, vcc_lo, v2, v50
	s_delay_alu instid0(VALU_DEP_3) | instskip(NEXT) | instid1(VALU_DEP_2)
	v_add_co_ci_u32_e32 v9, vcc_lo, v9, v51, vcc_lo
	v_add_co_u32 v52, vcc_lo, v2, v52
	s_delay_alu instid0(VALU_DEP_2)
	v_add_co_ci_u32_e32 v53, vcc_lo, v9, v53, vcc_lo
	v_mov_b32_e32 v2, v3
	ds_store_b64 v0, v[52:53]
	ds_store_b64 v0, v[2:3]
.LBB6_313:                              ;   in Loop: Header=BB6_310 Depth=3
	s_or_b32 exec_lo, exec_lo, s5
	v_and_b32_e32 v2, 12, v30
	s_mov_b32 s36, -1
	s_mov_b32 s5, exec_lo
	s_delay_alu instid0(VALU_DEP_1)
	v_cmpx_ne_u32_e32 0, v2
	s_cbranch_execz .LBB6_327
; %bb.314:                              ;   in Loop: Header=BB6_310 Depth=3
	v_dual_mov_b32 v9, 1 :: v_dual_and_b32 v2, 8, v30
	s_mov_b32 s6, s29
	s_mov_b32 s12, s13
	s_mov_b32 s13, s15
	s_delay_alu instid0(VALU_DEP_1)
	v_add_co_u32 v54, vcc_lo, v28, v2
	v_add_co_ci_u32_e32 v55, vcc_lo, 0, v29, vcc_lo
	v_add_co_u32 v52, vcc_lo, v22, 2
	v_add_co_ci_u32_e32 v53, vcc_lo, 0, v23, vcc_lo
	s_mov_b32 s15, s20
	s_mov_b32 s20, s34
	;; [unrolled: 1-line block ×3, first 2 shown]
	s_mov_b32 s29, exec_lo
	v_cmpx_lt_u64_e64 v[54:55], v[52:53]
	s_cbranch_execz .LBB6_326
; %bb.315:                              ;   in Loop: Header=BB6_310 Depth=3
	v_mov_b32_e32 v9, 0
	s_mov_b32 s31, 0
                                        ; implicit-def: $sgpr34
	s_branch .LBB6_319
.LBB6_316:                              ;   in Loop: Header=BB6_319 Depth=4
	s_or_b32 exec_lo, exec_lo, s39
	v_mov_b32_e32 v11, 0
	s_or_not1_b32 s38, s38, exec_lo
.LBB6_317:                              ;   in Loop: Header=BB6_319 Depth=4
	s_or_b32 exec_lo, exec_lo, s37
	s_delay_alu instid0(VALU_DEP_1) | instskip(SKIP_2) | instid1(SALU_CYCLE_1)
	v_mov_b32_e32 v9, v11
	s_and_not1_b32 vcc_lo, s34, exec_lo
	s_and_b32 s34, s38, exec_lo
	s_or_b32 s34, vcc_lo, s34
.LBB6_318:                              ;   in Loop: Header=BB6_319 Depth=4
	s_or_b32 exec_lo, exec_lo, s36
	s_waitcnt vmcnt(0) lgkmcnt(0)
	v_add_co_u32 v54, vcc_lo, v28, v2
	v_add_co_ci_u32_e32 v55, vcc_lo, 0, v29, vcc_lo
	s_xor_b32 s36, s34, -1
	s_delay_alu instid0(VALU_DEP_1) | instskip(SKIP_1) | instid1(SALU_CYCLE_1)
	v_cmp_ge_u64_e32 vcc_lo, v[54:55], v[52:53]
	s_or_b32 vcc_lo, s36, vcc_lo
	s_and_b32 vcc_lo, exec_lo, vcc_lo
	s_delay_alu instid0(SALU_CYCLE_1) | instskip(NEXT) | instid1(SALU_CYCLE_1)
	s_or_b32 s31, vcc_lo, s31
	s_and_not1_b32 exec_lo, exec_lo, s31
	s_cbranch_execz .LBB6_325
.LBB6_319:                              ;   Parent Loop BB6_51 Depth=1
                                        ;     Parent Loop BB6_308 Depth=2
                                        ;       Parent Loop BB6_310 Depth=3
                                        ; =>      This Inner Loop Header: Depth=4
	s_sleep 1
	flat_load_b64 v[28:29], v[20:21] glc
	v_and_b32_e32 v11, 64, v30
	s_and_not1_b32 s34, s34, exec_lo
	s_mov_b32 s36, exec_lo
	s_delay_alu instid0(VALU_DEP_1)
	v_cmpx_eq_u32_e32 0, v11
	s_cbranch_execz .LBB6_318
; %bb.320:                              ;   in Loop: Header=BB6_319 Depth=4
	v_add_nc_u32_e32 v11, 1, v9
	s_mov_b32 s38, -1
	s_mov_b32 s37, exec_lo
	v_cmpx_lt_i32_e32 0x270e, v9
	s_cbranch_execz .LBB6_317
; %bb.321:                              ;   in Loop: Header=BB6_319 Depth=4
	s_cbranch_execnz .LBB6_1516
; %bb.322:                              ;   in Loop: Header=BB6_319 Depth=4
	ds_load_b64 v[54:55], v0
	s_mov_b32 s39, exec_lo
	s_waitcnt vmcnt(0) lgkmcnt(0)
	s_waitcnt_vscnt null, 0x0
	flat_load_b32 v9, v[54:55] glc
	s_waitcnt vmcnt(0) lgkmcnt(0)
	buffer_gl1_inv
	buffer_gl0_inv
	v_cmpx_ne_u32_e32 0, v9
	s_cbranch_execz .LBB6_316
; %bb.323:                              ;   in Loop: Header=BB6_319 Depth=4
	ds_store_b32 v0, v9
	s_cbranch_execnz .LBB6_1566
; %bb.324:                              ;   in Loop: Header=BB6_319 Depth=4
	v_or_b32_e32 v30, 64, v30
	s_xor_b32 s38, exec_lo, -1
	s_branch .LBB6_316
.LBB6_325:                              ;   in Loop: Header=BB6_310 Depth=3
	s_or_b32 exec_lo, exec_lo, s31
	v_and_b32_e32 v9, 12, v30
.LBB6_326:                              ;   in Loop: Header=BB6_310 Depth=3
	s_or_b32 exec_lo, exec_lo, s29
	s_delay_alu instid0(VALU_DEP_1)
	v_cmp_eq_u32_e32 vcc_lo, 0, v9
	s_mov_b32 s31, s28
	s_mov_b32 s34, s20
	;; [unrolled: 1-line block ×4, first 2 shown]
	s_or_not1_b32 s36, vcc_lo, exec_lo
	s_mov_b32 s13, s12
	s_mov_b32 s29, s6
	;;#ASMSTART
	s_wakeup
	;;#ASMEND
.LBB6_327:                              ;   in Loop: Header=BB6_310 Depth=3
	s_or_b32 exec_lo, exec_lo, s5
	v_sub_nc_u32_e32 v2, v66, v10
	s_xor_b32 s6, s36, -1
	s_delay_alu instid0(VALU_DEP_1)
	v_min_i32_e32 v8, v8, v2
	s_and_saveexec_b32 s5, s6
	s_cbranch_execz .LBB6_342
; %bb.328:                              ;   in Loop: Header=BB6_310 Depth=3
	v_and_b32_e32 v2, 0x108, v30
	s_mov_b32 s6, s29
	s_mov_b32 s12, s13
	;; [unrolled: 1-line block ×4, first 2 shown]
	s_mov_b32 s13, exec_lo
	v_cmpx_ne_u32_e32 0x108, v2
	s_xor_b32 s13, exec_lo, s13
                                        ; implicit-def: $vgpr52_vgpr53
; %bb.329:                              ;   in Loop: Header=BB6_310 Depth=3
	v_and_b32_e32 v52, 7, v22
; %bb.330:                              ;   in Loop: Header=BB6_310 Depth=3
	s_and_not1_saveexec_b32 s13, s13
	s_cbranch_execz .LBB6_332
; %bb.331:                              ;   in Loop: Header=BB6_310 Depth=3
	v_and_b32_e32 v52, 7, v22
	v_ashrrev_i32_e32 v9, 31, v8
	s_delay_alu instid0(VALU_DEP_2) | instskip(NEXT) | instid1(VALU_DEP_2)
	v_mad_u64_u32 v[53:54], null, v52, 24, v[6:7]
	v_lshlrev_b64 v[64:65], 3, v[8:9]
	flat_store_b64 v[53:54], v[64:65] offset:8
.LBB6_332:                              ;   in Loop: Header=BB6_310 Depth=3
	s_or_b32 exec_lo, exec_lo, s13
	v_and_b32_e32 v2, 0x100, v30
	s_mov_b32 s13, -1
	s_mov_b32 s31, exec_lo
                                        ; implicit-def: $vgpr53_vgpr54
	s_delay_alu instid0(VALU_DEP_1)
	v_cmpx_ne_u32_e32 0, v2
	s_cbranch_execnz .LBB6_335
; %bb.333:                              ;   in Loop: Header=BB6_310 Depth=3
	s_or_b32 exec_lo, exec_lo, s31
	s_and_saveexec_b32 vcc_lo, s13
	s_cbranch_execnz .LBB6_338
.LBB6_334:                              ;   in Loop: Header=BB6_310 Depth=3
	s_or_b32 exec_lo, exec_lo, vcc_lo
	s_cbranch_execnz .LBB6_1510
	s_branch .LBB6_339
.LBB6_335:                              ;   in Loop: Header=BB6_310 Depth=3
	v_mad_u64_u32 v[64:65], null, v52, 24, v[6:7]
	s_mov_b32 s34, exec_lo
	s_delay_alu instid0(VALU_DEP_1) | instskip(NEXT) | instid1(VALU_DEP_1)
	v_mov_b32_e32 v2, v65
	v_mad_u64_u32 v[53:54], null, v3, 24, v[2:3]
	s_delay_alu instid0(VALU_DEP_1)
	v_mov_b32_e32 v65, v53
                                        ; implicit-def: $vgpr53_vgpr54
	flat_load_b32 v2, v[64:65]
	s_waitcnt vmcnt(0) lgkmcnt(0)
	v_cmp_ne_u32_e32 vcc_lo, 1, v2
	v_cmpx_eq_u32_e32 1, v2
	s_cbranch_execz .LBB6_337
; %bb.336:                              ;   in Loop: Header=BB6_310 Depth=3
	flat_load_b32 v53, v[64:65] offset:4 glc
	s_waitcnt vmcnt(0) lgkmcnt(0)
	v_ashrrev_i32_e32 v54, 31, v53
	s_delay_alu instid0(VALU_DEP_1)
	v_lshrrev_b64 v[53:54], 3, v[53:54]
.LBB6_337:                              ;   in Loop: Header=BB6_310 Depth=3
	s_or_b32 exec_lo, exec_lo, s34
	s_delay_alu instid0(SALU_CYCLE_1)
	s_or_not1_b32 s13, vcc_lo, exec_lo
	s_or_b32 exec_lo, exec_lo, s31
	s_and_saveexec_b32 vcc_lo, s13
	s_cbranch_execz .LBB6_334
.LBB6_338:                              ;   in Loop: Header=BB6_310 Depth=3
	v_mul_lo_u32 v2, v3, v81
	v_mul_lo_u32 v9, v52, v82
	v_mad_u64_u32 v[53:54], null, v52, v81, 0
	s_delay_alu instid0(VALU_DEP_1)
	v_add3_u32 v54, v54, v9, v2
	s_or_b32 exec_lo, exec_lo, vcc_lo
	s_cbranch_execnz .LBB6_1510
.LBB6_339:                              ;   in Loop: Header=BB6_310 Depth=3
	s_delay_alu instid0(VALU_DEP_1) | instskip(SKIP_2) | instid1(VALU_DEP_2)
	v_lshlrev_b64 v[52:53], 3, v[53:54]
	v_and_b32_e32 v2, 0x2000, v30
	s_mov_b32 s13, exec_lo
	v_add_co_u32 v52, vcc_lo, v24, v52
	s_delay_alu instid0(VALU_DEP_3)
	v_add_co_ci_u32_e32 v53, vcc_lo, v25, v53, vcc_lo
	ds_store_b64 v0, v[52:53]
	v_cmpx_ne_u32_e32 0, v2
	s_cbranch_execz .LBB6_341
; %bb.340:                              ;   in Loop: Header=BB6_310 Depth=3
	ds_load_b64 v[52:53], v0 offset:584
	s_waitcnt lgkmcnt(0)
	v_add_co_u32 v52, vcc_lo, v52, 1
	v_add_co_ci_u32_e32 v53, vcc_lo, 0, v53, vcc_lo
	ds_store_b64 v0, v[52:53] offset:584
.LBB6_341:                              ;   in Loop: Header=BB6_310 Depth=3
	s_or_b32 exec_lo, exec_lo, s13
	v_add_co_u32 v22, vcc_lo, v22, 2
	v_add_co_ci_u32_e32 v23, vcc_lo, 0, v23, vcc_lo
	s_mov_b32 s31, s29
	s_mov_b32 s34, s28
	;; [unrolled: 1-line block ×4, first 2 shown]
.LBB6_342:                              ;   in Loop: Header=BB6_310 Depth=3
	s_or_b32 exec_lo, exec_lo, s5
	v_writelane_b32 v47, s13, 14
	v_writelane_b32 v47, s15, 15
	s_and_saveexec_b32 s6, s3
	s_cbranch_execz .LBB6_364
; %bb.343:                              ;   in Loop: Header=BB6_310 Depth=3
	s_mov_b32 s15, s29
	s_mov_b32 s5, s20
	s_mov_b32 s12, s34
	s_mov_b32 s13, s31
	s_mov_b32 s28, s4
	s_and_saveexec_b32 s20, s4
	s_delay_alu instid0(SALU_CYCLE_1)
	s_xor_b32 s4, exec_lo, s20
	s_cbranch_execz .LBB6_361
; %bb.344:                              ;   in Loop: Header=BB6_310 Depth=3
	s_and_saveexec_b32 s20, s1
	s_cbranch_execz .LBB6_360
; %bb.345:                              ;   in Loop: Header=BB6_310 Depth=3
	s_mov_b32 s31, exec_lo
	s_mov_b32 s29, exec_lo
	v_mbcnt_lo_u32_b32 v2, s31, 0
	s_waitcnt lgkmcnt(0)
	s_waitcnt_vscnt null, 0x0
	buffer_gl1_inv
	buffer_gl0_inv
	v_cmpx_eq_u32_e32 0, v2
	s_cbranch_execz .LBB6_347
; %bb.346:                              ;   in Loop: Header=BB6_310 Depth=3
	s_bcnt1_i32_b32 vcc_lo, s31
	s_delay_alu instid0(SALU_CYCLE_1)
	v_mov_b32_e32 v2, vcc_lo
	ds_add_u64 v0, v[2:3]
	s_cbranch_execnz .LBB6_1622
.LBB6_347:                              ;   in Loop: Header=BB6_310 Depth=3
	s_or_b32 exec_lo, exec_lo, s29
	s_cbranch_execnz .LBB6_1588
; %bb.348:                              ;   in Loop: Header=BB6_310 Depth=3
	ds_load_b64 v[52:53], v0
	v_add_co_u32 v12, vcc_lo, v12, v83
	v_add_co_ci_u32_e32 v13, vcc_lo, 0, v13, vcc_lo
	s_mov_b32 s29, exec_lo
	s_waitcnt lgkmcnt(0)
	s_delay_alu instid0(VALU_DEP_1)
	v_cmpx_lt_u64_e64 v[52:53], v[12:13]
	s_cbranch_execz .LBB6_359
; %bb.349:                              ;   in Loop: Header=BB6_310 Depth=3
	s_mov_b32 s31, 0
	s_mov_b32 s37, 0
                                        ; implicit-def: $sgpr34
                                        ; implicit-def: $sgpr36
	s_branch .LBB6_351
.LBB6_350:                              ;   in Loop: Header=BB6_351 Depth=4
	s_or_b32 exec_lo, exec_lo, s39
	s_delay_alu instid0(SALU_CYCLE_1) | instskip(NEXT) | instid1(SALU_CYCLE_1)
	s_and_b32 vcc_lo, exec_lo, vcc_lo
	s_or_b32 s31, vcc_lo, s31
	s_and_not1_b32 vcc_lo, s34, exec_lo
	s_and_b32 s34, s36, exec_lo
	s_delay_alu instid0(SALU_CYCLE_1)
	s_or_b32 s34, vcc_lo, s34
	s_and_not1_b32 exec_lo, exec_lo, s31
	s_cbranch_execz .LBB6_357
.LBB6_351:                              ;   Parent Loop BB6_51 Depth=1
                                        ;     Parent Loop BB6_308 Depth=2
                                        ;       Parent Loop BB6_310 Depth=3
                                        ; =>      This Inner Loop Header: Depth=4
	s_add_i32 s37, s37, 1
                                        ; implicit-def: $sgpr39
	s_delay_alu instid0(SALU_CYCLE_1) | instskip(SKIP_1) | instid1(SALU_CYCLE_1)
	s_cmpk_lg_i32 s37, 0x2710
	s_cselect_b32 s38, -1, 0
	s_and_b32 vcc_lo, exec_lo, s38
	s_cbranch_vccz .LBB6_355
.LBB6_352:                              ;   in Loop: Header=BB6_351 Depth=4
	s_and_not1_b32 s36, s36, exec_lo
	s_and_b32 s39, s39, exec_lo
	s_mov_b32 vcc_lo, -1
	s_or_b32 s36, s36, s39
	s_and_saveexec_b32 s39, s38
	s_cbranch_execz .LBB6_350
; %bb.353:                              ;   in Loop: Header=BB6_351 Depth=4
	s_sleep 1
	s_cbranch_execnz .LBB6_1670
; %bb.354:                              ;   in Loop: Header=BB6_351 Depth=4
	ds_load_b64 v[52:53], v0
	s_and_not1_b32 s36, s36, exec_lo
	s_waitcnt lgkmcnt(0)
	v_cmp_ge_u64_e32 vcc_lo, v[52:53], v[12:13]
	s_or_not1_b32 vcc_lo, vcc_lo, exec_lo
	s_branch .LBB6_350
.LBB6_355:                              ;   in Loop: Header=BB6_351 Depth=4
	s_cbranch_execnz .LBB6_1678
; %bb.356:                              ;   in Loop: Header=BB6_351 Depth=4
	ds_load_b64 v[52:53], v0
	s_and_not1_b32 s38, s38, exec_lo
	s_mov_b32 s37, 0
	s_mov_b32 s39, -1
	s_waitcnt lgkmcnt(0)
	flat_load_b32 v2, v[52:53] glc
	s_waitcnt vmcnt(0) lgkmcnt(0)
	buffer_gl1_inv
	buffer_gl0_inv
	v_cmp_eq_u32_e32 vcc_lo, 0, v2
	s_and_b32 vcc_lo, vcc_lo, exec_lo
	s_delay_alu instid0(SALU_CYCLE_1)
	s_or_b32 s38, s38, vcc_lo
	s_branch .LBB6_352
.LBB6_357:                              ;   in Loop: Header=BB6_310 Depth=3
	s_or_b32 exec_lo, exec_lo, s31
	s_and_saveexec_b32 vcc_lo, s34
	s_delay_alu instid0(SALU_CYCLE_1)
	s_xor_b32 vcc_lo, exec_lo, vcc_lo
	s_cbranch_execz .LBB6_359
; %bb.358:                              ;   in Loop: Header=BB6_310 Depth=3
	ds_store_b32 v0, v130
	s_cbranch_execnz .LBB6_1880
.LBB6_359:                              ;   in Loop: Header=BB6_310 Depth=3
	s_or_b32 exec_lo, exec_lo, s29
	;;#ASMSTART
	s_wakeup
	;;#ASMEND
.LBB6_360:                              ;   in Loop: Header=BB6_310 Depth=3
	s_or_b32 exec_lo, exec_lo, s20
.LBB6_361:                              ;   in Loop: Header=BB6_310 Depth=3
	s_and_not1_saveexec_b32 s4, s4
	s_cbranch_execz .LBB6_363
; %bb.362:                              ;   in Loop: Header=BB6_310 Depth=3
	s_waitcnt lgkmcnt(0)
	s_waitcnt_vscnt null, 0x0
	buffer_gl1_inv
	buffer_gl0_inv
	s_barrier
.LBB6_363:                              ;   in Loop: Header=BB6_310 Depth=3
	s_or_b32 exec_lo, exec_lo, s4
	s_mov_b32 s31, s13
	s_mov_b32 s34, s12
	;; [unrolled: 1-line block ×5, first 2 shown]
.LBB6_364:                              ;   in Loop: Header=BB6_310 Depth=3
	s_or_b32 exec_lo, exec_lo, s6
	s_cbranch_execnz .LBB6_1489
; %bb.365:                              ;   in Loop: Header=BB6_310 Depth=3
	ds_load_b32 v11, v0
	v_and_b32_e32 v2, 0x4000, v30
	s_mov_b32 s36, s2
	s_xor_b32 s2, s2, -1
	s_mov_b32 s12, s20
	s_mov_b32 s5, s14
	v_cmp_ne_u32_e32 vcc_lo, 0, v2
	s_and_b32 s2, s2, vcc_lo
	s_delay_alu instid0(SALU_CYCLE_1)
	s_and_saveexec_b32 s6, s2
	s_cbranch_execz .LBB6_387
; %bb.366:                              ;   in Loop: Header=BB6_310 Depth=3
	s_and_saveexec_b32 s2, s4
	s_delay_alu instid0(SALU_CYCLE_1)
	s_xor_b32 s2, exec_lo, s2
	s_cbranch_execz .LBB6_384
; %bb.367:                              ;   in Loop: Header=BB6_310 Depth=3
	s_and_saveexec_b32 s13, s1
	s_cbranch_execz .LBB6_383
; %bb.368:                              ;   in Loop: Header=BB6_310 Depth=3
	s_mov_b32 s15, exec_lo
	s_mov_b32 s14, exec_lo
	v_mbcnt_lo_u32_b32 v2, s15, 0
	s_waitcnt lgkmcnt(0)
	s_waitcnt_vscnt null, 0x0
	buffer_gl1_inv
	buffer_gl0_inv
	v_cmpx_eq_u32_e32 0, v2
	s_cbranch_execz .LBB6_370
; %bb.369:                              ;   in Loop: Header=BB6_310 Depth=3
	s_bcnt1_i32_b32 s15, s15
	s_delay_alu instid0(SALU_CYCLE_1)
	v_mov_b32_e32 v2, s15
	ds_add_u64 v0, v[2:3]
	s_cbranch_execnz .LBB6_1654
.LBB6_370:                              ;   in Loop: Header=BB6_310 Depth=3
	s_or_b32 exec_lo, exec_lo, s14
	s_cbranch_execnz .LBB6_1644
; %bb.371:                              ;   in Loop: Header=BB6_310 Depth=3
	ds_load_b64 v[52:53], v0
	v_add_co_u32 v12, vcc_lo, v12, v83
	v_add_co_ci_u32_e32 v13, vcc_lo, 0, v13, vcc_lo
	s_mov_b32 s14, exec_lo
	s_waitcnt lgkmcnt(0)
	s_delay_alu instid0(VALU_DEP_1)
	v_cmpx_lt_u64_e64 v[52:53], v[12:13]
	s_cbranch_execz .LBB6_382
; %bb.372:                              ;   in Loop: Header=BB6_310 Depth=3
	s_mov_b32 s15, 0
	s_mov_b32 s37, 0
                                        ; implicit-def: $sgpr20
                                        ; implicit-def: $sgpr28
	s_branch .LBB6_374
.LBB6_373:                              ;   in Loop: Header=BB6_374 Depth=4
	s_or_b32 exec_lo, exec_lo, s39
	s_delay_alu instid0(SALU_CYCLE_1) | instskip(NEXT) | instid1(SALU_CYCLE_1)
	s_and_b32 vcc_lo, exec_lo, vcc_lo
	s_or_b32 s15, vcc_lo, s15
	s_and_not1_b32 s20, s20, exec_lo
	s_and_b32 vcc_lo, s28, exec_lo
	s_delay_alu instid0(SALU_CYCLE_1)
	s_or_b32 s20, s20, vcc_lo
	s_and_not1_b32 exec_lo, exec_lo, s15
	s_cbranch_execz .LBB6_380
.LBB6_374:                              ;   Parent Loop BB6_51 Depth=1
                                        ;     Parent Loop BB6_308 Depth=2
                                        ;       Parent Loop BB6_310 Depth=3
                                        ; =>      This Inner Loop Header: Depth=4
	s_add_i32 s37, s37, 1
                                        ; implicit-def: $sgpr39
	s_delay_alu instid0(SALU_CYCLE_1) | instskip(SKIP_1) | instid1(SALU_CYCLE_1)
	s_cmpk_lg_i32 s37, 0x2710
	s_cselect_b32 s38, -1, 0
	s_and_b32 vcc_lo, exec_lo, s38
	s_cbranch_vccz .LBB6_378
.LBB6_375:                              ;   in Loop: Header=BB6_374 Depth=4
	s_and_not1_b32 s28, s28, exec_lo
	s_and_b32 s39, s39, exec_lo
	s_mov_b32 vcc_lo, -1
	s_or_b32 s28, s28, s39
	s_and_saveexec_b32 s39, s38
	s_cbranch_execz .LBB6_373
; %bb.376:                              ;   in Loop: Header=BB6_374 Depth=4
	s_sleep 1
	s_cbranch_execnz .LBB6_1718
; %bb.377:                              ;   in Loop: Header=BB6_374 Depth=4
	ds_load_b64 v[52:53], v0
	s_and_not1_b32 s28, s28, exec_lo
	s_waitcnt lgkmcnt(0)
	v_cmp_ge_u64_e32 vcc_lo, v[52:53], v[12:13]
	s_or_not1_b32 vcc_lo, vcc_lo, exec_lo
	s_branch .LBB6_373
.LBB6_378:                              ;   in Loop: Header=BB6_374 Depth=4
	s_cbranch_execnz .LBB6_1730
; %bb.379:                              ;   in Loop: Header=BB6_374 Depth=4
	ds_load_b64 v[52:53], v0
	s_and_not1_b32 s38, s38, exec_lo
	s_mov_b32 s37, 0
	s_mov_b32 s39, -1
	s_waitcnt lgkmcnt(0)
	flat_load_b32 v2, v[52:53] glc
	s_waitcnt vmcnt(0) lgkmcnt(0)
	buffer_gl1_inv
	buffer_gl0_inv
	v_cmp_eq_u32_e32 vcc_lo, 0, v2
	s_and_b32 vcc_lo, vcc_lo, exec_lo
	s_delay_alu instid0(SALU_CYCLE_1)
	s_or_b32 s38, s38, vcc_lo
	s_branch .LBB6_375
.LBB6_380:                              ;   in Loop: Header=BB6_310 Depth=3
	s_or_b32 exec_lo, exec_lo, s15
	s_and_saveexec_b32 s15, s20
	s_delay_alu instid0(SALU_CYCLE_1)
	s_xor_b32 s15, exec_lo, s15
	s_cbranch_execz .LBB6_382
; %bb.381:                              ;   in Loop: Header=BB6_310 Depth=3
	ds_store_b32 v0, v130
	s_cbranch_execnz .LBB6_1912
.LBB6_382:                              ;   in Loop: Header=BB6_310 Depth=3
	s_or_b32 exec_lo, exec_lo, s14
	;;#ASMSTART
	s_wakeup
	;;#ASMEND
.LBB6_383:                              ;   in Loop: Header=BB6_310 Depth=3
	s_or_b32 exec_lo, exec_lo, s13
.LBB6_384:                              ;   in Loop: Header=BB6_310 Depth=3
	s_and_not1_saveexec_b32 s2, s2
	s_cbranch_execz .LBB6_386
; %bb.385:                              ;   in Loop: Header=BB6_310 Depth=3
	s_waitcnt lgkmcnt(0)
	s_waitcnt_vscnt null, 0x0
	buffer_gl1_inv
	buffer_gl0_inv
	s_barrier
.LBB6_386:                              ;   in Loop: Header=BB6_310 Depth=3
	s_or_b32 exec_lo, exec_lo, s2
.LBB6_387:                              ;   in Loop: Header=BB6_310 Depth=3
	s_delay_alu instid0(SALU_CYCLE_1)
	s_or_b32 exec_lo, exec_lo, s6
	s_cbranch_execnz .LBB6_1532
; %bb.388:                              ;   in Loop: Header=BB6_310 Depth=3
	ds_load_b64 v[52:53], v0
	v_mov_b32_e32 v9, 0
	s_waitcnt lgkmcnt(0)
	v_cmp_eq_u64_e32 vcc_lo, 0, v[52:53]
	s_or_b32 s2, vcc_lo, vcc_lo
	s_delay_alu instid0(SALU_CYCLE_1)
	s_and_b32 vcc_lo, exec_lo, s2
	s_cbranch_vccnz .LBB6_427
; %bb.389:                              ;   in Loop: Header=BB6_310 Depth=3
	s_cbranch_execnz .LBB6_1586
; %bb.390:                              ;   in Loop: Header=BB6_310 Depth=3
	ds_load_b64 v[52:53], v0
	s_mov_b32 s2, -1
	s_mov_b32 s6, exec_lo
	v_readlane_b32 s13, v47, 4
	s_delay_alu instid0(VALU_DEP_1) | instskip(NEXT) | instid1(SALU_CYCLE_1)
	s_and_b32 s13, s6, s13
	s_mov_b32 exec_lo, s13
	s_cbranch_execz .LBB6_392
; %bb.391:                              ;   in Loop: Header=BB6_310 Depth=3
	ds_load_b32 v2, v0 offset:720
	s_waitcnt lgkmcnt(0)
	v_and_b32_e32 v2, 15, v2
	s_delay_alu instid0(VALU_DEP_1)
	v_cmp_eq_u32_e32 vcc_lo, 0, v2
	s_or_not1_b32 s2, vcc_lo, exec_lo
.LBB6_392:                              ;   in Loop: Header=BB6_310 Depth=3
	s_or_b32 exec_lo, exec_lo, s6
	s_and_saveexec_b32 s6, vcc_hi
	s_cbranch_execz .LBB6_394
; %bb.393:                              ;   in Loop: Header=BB6_310 Depth=3
	ds_load_b32 v2, v0 offset:784
	s_waitcnt lgkmcnt(0)
	v_and_b32_e32 v2, 15, v2
	s_delay_alu instid0(VALU_DEP_1) | instskip(SKIP_3) | instid1(SALU_CYCLE_1)
	v_cmp_eq_u32_e32 vcc_lo, 0, v2
	s_and_b32 s13, s2, vcc_lo
	s_and_not1_b32 s2, s2, exec_lo
	s_and_b32 s13, s13, exec_lo
	s_or_b32 s2, s2, s13
.LBB6_394:                              ;   in Loop: Header=BB6_310 Depth=3
	s_or_b32 exec_lo, exec_lo, s6
	v_cmp_eq_u32_e32 vcc_lo, 0, v11
	s_xor_b32 s2, s2, -1
	s_waitcnt lgkmcnt(0)
	v_and_b32_e32 v52, 1, v52
	v_cndmask_b32_e64 v2, 0, 1, s2
	;;#ASMSTART
	;;#ASMEND
	v_cndmask_b32_e32 v9, 0, v8, vcc_lo
	s_delay_alu instid0(VALU_DEP_2) | instskip(SKIP_1) | instid1(VALU_DEP_2)
	v_cmp_ne_u32_e32 vcc_lo, 0, v2
	s_mov_b32 s6, -1
	v_lshlrev_b32_e32 v2, 3, v9
	s_cbranch_vccz .LBB6_396
; %bb.395:                              ;   in Loop: Header=BB6_310 Depth=3
	v_cmp_eq_u32_e64 s13, 1, v52
	s_mov_b32 s6, 0
	s_mov_b32 s2, -1
	s_mov_b32 s14, 0
	s_branch .LBB6_397
.LBB6_396:                              ;   in Loop: Header=BB6_310 Depth=3
	s_mov_b32 s2, 0
                                        ; implicit-def: $sgpr14
                                        ; implicit-def: $sgpr13
.LBB6_397:                              ;   in Loop: Header=BB6_310 Depth=3
	s_and_not1_b32 vcc_lo, exec_lo, s6
	s_cbranch_vccnz .LBB6_413
; %bb.398:                              ;   in Loop: Header=BB6_310 Depth=3
	v_ashrrev_i32_e32 v11, 31, v2
	v_cmp_eq_u32_e64 s13, 1, v52
	s_mov_b32 s6, exec_lo
	s_delay_alu instid0(VALU_DEP_2) | instskip(NEXT) | instid1(VALU_DEP_1)
	v_lshrrev_b32_e32 v11, 21, v11
	v_add_nc_u32_e32 v11, v2, v11
	s_delay_alu instid0(VALU_DEP_1) | instskip(NEXT) | instid1(VALU_DEP_1)
	v_ashrrev_i32_e32 v11, 11, v11
	v_sub_nc_u32_e32 v67, v11, v84
	s_delay_alu instid0(VALU_DEP_1)
	v_cmpx_lt_i32_e32 0, v67
	s_cbranch_execz .LBB6_403
; %bb.399:                              ;   in Loop: Header=BB6_310 Depth=3
	s_cbranch_execnz .LBB6_1708
; %bb.400:                              ;   in Loop: Header=BB6_310 Depth=3
	ds_load_b128 v[52:55], v0
	ds_load_b64 v[64:65], v0
	s_mov_b32 s15, 0
	s_waitcnt lgkmcnt(1)
	v_add_co_u32 v52, vcc_lo, v52, v118
	v_add_co_ci_u32_e32 v53, vcc_lo, v53, v119, vcc_lo
	v_add_co_u32 v54, vcc_lo, v54, v118
	v_add_co_ci_u32_e32 v55, vcc_lo, v55, v119, vcc_lo
	s_waitcnt lgkmcnt(0)
	v_add_co_u32 v64, vcc_lo, v64, v118
	v_add_co_ci_u32_e32 v65, vcc_lo, v65, v119, vcc_lo
.LBB6_401:                              ;   Parent Loop BB6_51 Depth=1
                                        ;     Parent Loop BB6_308 Depth=2
                                        ;       Parent Loop BB6_310 Depth=3
                                        ; =>      This Inner Loop Header: Depth=4
	global_load_b128 v[68:71], v[54:55], off slc dlc
	global_load_b128 v[131:134], v[52:53], off slc dlc
	global_load_b128 v[144:147], v[54:55], off offset:512 slc dlc
	global_load_b128 v[148:151], v[52:53], off offset:512 slc dlc
	;; [unrolled: 1-line block ×6, first 2 shown]
	v_add_co_u32 v52, vcc_lo, v52, v128
	v_sub_nc_u32_e32 v67, v67, v83
	v_add_co_ci_u32_e32 v53, vcc_lo, v53, v129, vcc_lo
	v_add_co_u32 v54, vcc_lo, v54, v128
	v_add_co_ci_u32_e32 v55, vcc_lo, v55, v129, vcc_lo
	s_delay_alu instid0(VALU_DEP_4)
	v_cmp_gt_i32_e32 vcc_lo, 1, v67
	s_or_b32 s15, vcc_lo, s15
	s_waitcnt vmcnt(7)
	v_max_f64 v[68:69], v[68:69], v[68:69]
	s_waitcnt vmcnt(6)
	v_max_f64 v[131:132], v[131:132], v[131:132]
	v_max_f64 v[70:71], v[70:71], v[70:71]
	v_max_f64 v[133:134], v[133:134], v[133:134]
	s_waitcnt vmcnt(5)
	v_max_f64 v[144:145], v[144:145], v[144:145]
	s_waitcnt vmcnt(4)
	v_max_f64 v[148:149], v[148:149], v[148:149]
	v_max_f64 v[146:147], v[146:147], v[146:147]
	v_max_f64 v[150:151], v[150:151], v[150:151]
	s_waitcnt vmcnt(3)
	v_max_f64 v[160:161], v[160:161], v[160:161]
	s_waitcnt vmcnt(2)
	v_max_f64 v[164:165], v[164:165], v[164:165]
	v_max_f64 v[162:163], v[162:163], v[162:163]
	v_max_f64 v[166:167], v[166:167], v[166:167]
	s_waitcnt vmcnt(1)
	v_max_f64 v[176:177], v[176:177], v[176:177]
	s_waitcnt vmcnt(0)
	v_max_f64 v[180:181], v[180:181], v[180:181]
	v_max_f64 v[178:179], v[178:179], v[178:179]
	v_max_f64 v[182:183], v[182:183], v[182:183]
	v_min_f64 v[40:41], v[131:132], v[68:69]
	v_max_f64 v[68:69], v[131:132], v[68:69]
	v_min_f64 v[131:132], v[133:134], v[70:71]
	v_max_f64 v[70:71], v[133:134], v[70:71]
	;; [unrolled: 2-line block ×8, first 2 shown]
	v_cndmask_b32_e64 v69, v41, v69, s13
	v_cndmask_b32_e64 v68, v40, v68, s13
	;; [unrolled: 1-line block ×16, first 2 shown]
	s_clause 0x3
	global_store_b128 v[64:65], v[68:71], off glc slc dlc
	global_store_b128 v[64:65], v[131:134], off offset:512 glc slc dlc
	global_store_b128 v[64:65], v[144:147], off offset:1024 glc slc dlc
	;; [unrolled: 1-line block ×3, first 2 shown]
	v_add_co_u32 v64, s14, v64, v128
	s_delay_alu instid0(VALU_DEP_1)
	v_add_co_ci_u32_e64 v65, s14, v65, v129, s14
	s_and_not1_b32 exec_lo, exec_lo, s15
	s_cbranch_execnz .LBB6_401
; %bb.402:                              ;   in Loop: Header=BB6_310 Depth=3
	s_or_b32 exec_lo, exec_lo, s15
.LBB6_403:                              ;   in Loop: Header=BB6_310 Depth=3
	s_delay_alu instid0(SALU_CYCLE_1) | instskip(SKIP_2) | instid1(VALU_DEP_1)
	s_or_b32 exec_lo, exec_lo, s6
	v_lshlrev_b32_e32 v69, 11, v11
	s_mov_b32 s6, exec_lo
                                        ; implicit-def: $vgpr11
                                        ; implicit-def: $vgpr68
                                        ; implicit-def: $vgpr52
	v_cmpx_ne_u32_e64 v2, v69
	s_cbranch_execz .LBB6_412
; %bb.404:                              ;   in Loop: Header=BB6_310 Depth=3
	v_lshlrev_b32_e32 v11, 5, v67
	v_sub_nc_u32_e32 v53, v2, v69
	s_mov_b32 s20, exec_lo
	s_delay_alu instid0(VALU_DEP_2) | instskip(NEXT) | instid1(VALU_DEP_2)
	v_sub_nc_u32_e32 v11, v85, v11
	v_ashrrev_i32_e32 v54, 31, v53
	s_delay_alu instid0(VALU_DEP_2) | instskip(NEXT) | instid1(VALU_DEP_2)
	v_ashrrev_i32_e32 v52, 31, v11
	v_lshrrev_b32_e32 v54, 23, v54
	s_delay_alu instid0(VALU_DEP_2) | instskip(NEXT) | instid1(VALU_DEP_2)
	v_lshrrev_b32_e32 v52, 27, v52
	v_add_nc_u32_e32 v54, v53, v54
	s_delay_alu instid0(VALU_DEP_2) | instskip(NEXT) | instid1(VALU_DEP_2)
	v_add_nc_u32_e32 v52, v11, v52
	v_and_b32_e32 v67, 0xfffffe00, v54
	v_ashrrev_i32_e32 v54, 9, v54
	s_delay_alu instid0(VALU_DEP_3) | instskip(NEXT) | instid1(VALU_DEP_3)
	v_and_b32_e32 v55, 0xffffffe0, v52
	v_sub_nc_u32_e32 v71, v53, v67
	s_delay_alu instid0(VALU_DEP_2) | instskip(SKIP_1) | instid1(VALU_DEP_3)
	v_sub_nc_u32_e32 v70, v11, v55
	v_ashrrev_i32_e32 v55, 5, v52
	v_cmp_lt_i32_e32 vcc_lo, 15, v71
	s_delay_alu instid0(VALU_DEP_3) | instskip(SKIP_1) | instid1(VALU_DEP_2)
	v_lshlrev_b32_e32 v11, 4, v70
	v_add_co_ci_u32_e64 v54, s14, 0, v54, vcc_lo
	v_lshl_add_u32 v52, v55, 9, v11
	s_delay_alu instid0(VALU_DEP_2) | instskip(NEXT) | instid1(VALU_DEP_2)
	v_sub_nc_u32_e32 v131, v54, v55
	v_sub_nc_u32_e32 v11, v53, v52
	s_delay_alu instid0(VALU_DEP_1)
	v_cmpx_lt_i32_e32 15, v11
	s_cbranch_execz .LBB6_409
; %bb.405:                              ;   in Loop: Header=BB6_310 Depth=3
	s_cbranch_execnz .LBB6_1770
; %bb.406:                              ;   in Loop: Header=BB6_310 Depth=3
	ds_load_b128 v[132:135], v0
	ds_load_b64 v[64:65], v0
	v_add_nc_u32_e32 v68, v52, v69
	s_mov_b32 s28, 0
	s_delay_alu instid0(VALU_DEP_1) | instskip(SKIP_2) | instid1(VALU_DEP_1)
	v_ashrrev_i32_e32 v144, 31, v68
	s_waitcnt lgkmcnt(1)
	v_add_co_u32 v52, s14, v132, v68
	v_add_co_ci_u32_e64 v53, s14, v133, v144, s14
	v_add_co_u32 v54, s14, v134, v68
	s_delay_alu instid0(VALU_DEP_1) | instskip(SKIP_2) | instid1(VALU_DEP_1)
	v_add_co_ci_u32_e64 v55, s14, v135, v144, s14
	s_waitcnt lgkmcnt(0)
	v_add_co_u32 v64, s14, v64, v68
	v_add_co_ci_u32_e64 v65, s14, v65, v144, s14
.LBB6_407:                              ;   Parent Loop BB6_51 Depth=1
                                        ;     Parent Loop BB6_308 Depth=2
                                        ;       Parent Loop BB6_310 Depth=3
                                        ; =>      This Inner Loop Header: Depth=4
	global_load_b128 v[132:135], v[54:55], off slc dlc
	global_load_b128 v[144:147], v[52:53], off slc dlc
	v_add_co_u32 v52, s14, v52, v102
	v_sub_nc_u32_e32 v11, v11, v87
	v_add_co_ci_u32_e64 v53, s14, v53, v103, s14
	v_add_co_u32 v54, s14, v54, v102
	s_delay_alu instid0(VALU_DEP_1) | instskip(NEXT) | instid1(VALU_DEP_4)
	v_add_co_ci_u32_e64 v55, s14, v55, v103, s14
	v_cmp_gt_i32_e64 s14, 16, v11
	v_sub_nc_u32_e32 v131, v131, v83
	s_delay_alu instid0(VALU_DEP_2)
	s_or_b32 s28, s14, s28
	s_waitcnt vmcnt(1)
	v_max_f64 v[132:133], v[132:133], v[132:133]
	s_waitcnt vmcnt(0)
	v_max_f64 v[144:145], v[144:145], v[144:145]
	v_max_f64 v[134:135], v[134:135], v[134:135]
	;; [unrolled: 1-line block ×3, first 2 shown]
	s_delay_alu instid0(VALU_DEP_3) | instskip(SKIP_1) | instid1(VALU_DEP_3)
	v_min_f64 v[148:149], v[144:145], v[132:133]
	v_max_f64 v[132:133], v[144:145], v[132:133]
	v_min_f64 v[144:145], v[146:147], v[134:135]
	v_max_f64 v[134:135], v[146:147], v[134:135]
	s_delay_alu instid0(VALU_DEP_3) | instskip(NEXT) | instid1(VALU_DEP_4)
	v_cndmask_b32_e64 v133, v149, v133, s13
	v_cndmask_b32_e64 v132, v148, v132, s13
	s_delay_alu instid0(VALU_DEP_3) | instskip(NEXT) | instid1(VALU_DEP_4)
	v_cndmask_b32_e64 v135, v145, v135, s13
	v_cndmask_b32_e64 v134, v144, v134, s13
	global_store_b128 v[64:65], v[132:135], off glc slc dlc
	v_add_co_u32 v64, s15, v64, v102
	s_delay_alu instid0(VALU_DEP_1)
	v_add_co_ci_u32_e64 v65, s15, v65, v103, s15
	s_and_not1_b32 exec_lo, exec_lo, s28
	s_cbranch_execnz .LBB6_407
; %bb.408:                              ;   in Loop: Header=BB6_310 Depth=3
	s_or_b32 exec_lo, exec_lo, s28
.LBB6_409:                              ;   in Loop: Header=BB6_310 Depth=3
	s_delay_alu instid0(SALU_CYCLE_1) | instskip(SKIP_3) | instid1(VALU_DEP_1)
	s_or_b32 exec_lo, exec_lo, s20
	v_and_b32_e32 v53, 8, v2
	s_mov_b32 s15, s2
	s_mov_b32 s20, exec_lo
                                        ; implicit-def: $vgpr11
                                        ; implicit-def: $vgpr68
                                        ; implicit-def: $vgpr52
	v_cndmask_b32_e32 v2, v71, v53, vcc_lo
	s_delay_alu instid0(VALU_DEP_1)
	v_cmpx_ne_u32_e32 0, v2
; %bb.410:                              ;   in Loop: Header=BB6_310 Depth=3
	v_cmp_lt_i32_e64 s14, 0, v131
	v_sub_nc_u32_e32 v52, v71, v53
	s_or_b32 s15, s2, exec_lo
	s_delay_alu instid0(VALU_DEP_2) | instskip(NEXT) | instid1(VALU_DEP_1)
	v_cndmask_b32_e64 v11, 0, v83, s14
	v_sub_nc_u32_e32 v11, v11, v131
	s_delay_alu instid0(VALU_DEP_1) | instskip(NEXT) | instid1(VALU_DEP_1)
	v_lshl_add_u32 v68, v11, 5, v70
	v_ashrrev_i32_e32 v11, 31, v68
	s_delay_alu instid0(VALU_DEP_1) | instskip(NEXT) | instid1(VALU_DEP_1)
	v_lshrrev_b32_e32 v11, 27, v11
	v_dual_cndmask_b32 v52, 0, v52 :: v_dual_add_nc_u32 v53, v68, v11
	s_delay_alu instid0(VALU_DEP_1) | instskip(NEXT) | instid1(VALU_DEP_2)
	v_add3_u32 v11, v67, v69, v52
	v_ashrrev_i32_e32 v52, 5, v53
; %bb.411:                              ;   in Loop: Header=BB6_310 Depth=3
	s_or_b32 exec_lo, exec_lo, s20
	s_delay_alu instid0(SALU_CYCLE_1) | instskip(SKIP_1) | instid1(SALU_CYCLE_1)
	s_and_not1_b32 s2, s2, exec_lo
	s_and_b32 s14, s15, exec_lo
	s_or_b32 s2, s2, s14
.LBB6_412:                              ;   in Loop: Header=BB6_310 Depth=3
	s_or_b32 exec_lo, exec_lo, s6
	s_branch .LBB6_414
.LBB6_413:                              ;   in Loop: Header=BB6_310 Depth=3
	v_dual_mov_b32 v11, s14 :: v_dual_mov_b32 v68, v0
	v_mov_b32_e32 v52, v84
.LBB6_414:                              ;   in Loop: Header=BB6_310 Depth=3
	s_and_saveexec_b32 s6, s2
	s_cbranch_execz .LBB6_426
; %bb.415:                              ;   in Loop: Header=BB6_310 Depth=3
	v_ashrrev_i32_e32 v53, 31, v2
	s_mov_b32 s2, exec_lo
	s_delay_alu instid0(VALU_DEP_1) | instskip(NEXT) | instid1(VALU_DEP_1)
	v_lshrrev_b32_e32 v53, 22, v53
	v_add_nc_u32_e32 v53, v2, v53
	s_delay_alu instid0(VALU_DEP_1) | instskip(NEXT) | instid1(VALU_DEP_1)
	v_ashrrev_i32_e32 v69, 10, v53
	v_sub_nc_u32_e32 v67, v69, v52
	s_delay_alu instid0(VALU_DEP_1)
	v_cmpx_lt_i32_e32 0, v67
	s_cbranch_execz .LBB6_420
; %bb.416:                              ;   in Loop: Header=BB6_310 Depth=3
	s_cbranch_execnz .LBB6_1720
; %bb.417:                              ;   in Loop: Header=BB6_310 Depth=3
	v_ashrrev_i32_e32 v53, 31, v68
	ds_load_b128 v[131:134], v0
	ds_load_b64 v[64:65], v0
	v_lshlrev_b32_e32 v52, 10, v52
	s_mov_b32 s15, 0
	v_lshrrev_b32_e32 v53, 27, v53
	s_delay_alu instid0(VALU_DEP_1) | instskip(NEXT) | instid1(VALU_DEP_1)
	v_add_nc_u32_e32 v53, v68, v53
	v_and_b32_e32 v53, 0x1fffffe0, v53
	s_delay_alu instid0(VALU_DEP_1) | instskip(NEXT) | instid1(VALU_DEP_1)
	v_sub_nc_u32_e32 v53, v68, v53
	v_lshlrev_b32_e32 v53, 3, v53
	s_delay_alu instid0(VALU_DEP_1) | instskip(NEXT) | instid1(VALU_DEP_1)
	v_add3_u32 v70, v53, v11, v52
	v_ashrrev_i32_e32 v71, 31, v70
	s_waitcnt lgkmcnt(1)
	v_add_co_u32 v52, vcc_lo, v131, v70
	s_delay_alu instid0(VALU_DEP_2)
	v_add_co_ci_u32_e32 v53, vcc_lo, v132, v71, vcc_lo
	v_add_co_u32 v54, vcc_lo, v133, v70
	v_add_co_ci_u32_e32 v55, vcc_lo, v134, v71, vcc_lo
	s_waitcnt lgkmcnt(0)
	v_add_co_u32 v64, vcc_lo, v64, v70
	v_add_co_ci_u32_e32 v65, vcc_lo, v65, v71, vcc_lo
.LBB6_418:                              ;   Parent Loop BB6_51 Depth=1
                                        ;     Parent Loop BB6_308 Depth=2
                                        ;       Parent Loop BB6_310 Depth=3
                                        ; =>      This Inner Loop Header: Depth=4
	flat_load_b64 v[70:71], v[54:55] slc dlc
	flat_load_b64 v[131:132], v[52:53] slc dlc
	flat_load_b64 v[133:134], v[54:55] offset:256 slc dlc
	flat_load_b64 v[144:145], v[52:53] offset:256 slc dlc
	;; [unrolled: 1-line block ×6, first 2 shown]
	v_add_co_u32 v52, vcc_lo, v52, v113
	v_sub_nc_u32_e32 v67, v67, v83
	v_add_co_ci_u32_e32 v53, vcc_lo, v53, v114, vcc_lo
	v_add_co_u32 v54, vcc_lo, v54, v113
	v_add_co_ci_u32_e32 v55, vcc_lo, v55, v114, vcc_lo
	s_delay_alu instid0(VALU_DEP_4)
	v_cmp_gt_i32_e32 vcc_lo, 1, v67
	s_or_b32 s15, vcc_lo, s15
	s_waitcnt vmcnt(7) lgkmcnt(7)
	v_max_f64 v[70:71], v[70:71], v[70:71]
	s_waitcnt vmcnt(6) lgkmcnt(6)
	v_max_f64 v[131:132], v[131:132], v[131:132]
	;; [unrolled: 2-line block ×8, first 2 shown]
	v_min_f64 v[162:163], v[131:132], v[70:71]
	v_max_f64 v[70:71], v[131:132], v[70:71]
	v_min_f64 v[131:132], v[144:145], v[133:134]
	v_max_f64 v[133:134], v[144:145], v[133:134]
	;; [unrolled: 2-line block ×4, first 2 shown]
	v_cndmask_b32_e64 v71, v163, v71, s13
	v_cndmask_b32_e64 v70, v162, v70, s13
	;; [unrolled: 1-line block ×8, first 2 shown]
	s_clause 0x3
	flat_store_b64 v[64:65], v[70:71] glc slc dlc
	flat_store_b64 v[64:65], v[131:132] offset:256 glc slc dlc
	flat_store_b64 v[64:65], v[133:134] offset:512 glc slc dlc
	;; [unrolled: 1-line block ×3, first 2 shown]
	v_add_co_u32 v64, s14, v64, v113
	s_delay_alu instid0(VALU_DEP_1)
	v_add_co_ci_u32_e64 v65, s14, v65, v114, s14
	s_and_not1_b32 exec_lo, exec_lo, s15
	s_cbranch_execnz .LBB6_418
; %bb.419:                              ;   in Loop: Header=BB6_310 Depth=3
	s_or_b32 exec_lo, exec_lo, s15
.LBB6_420:                              ;   in Loop: Header=BB6_310 Depth=3
	s_delay_alu instid0(SALU_CYCLE_1) | instskip(SKIP_2) | instid1(VALU_DEP_1)
	s_or_b32 exec_lo, exec_lo, s2
	v_lshlrev_b32_e32 v52, 10, v69
	s_mov_b32 s2, exec_lo
	v_cmpx_ne_u32_e64 v2, v52
	s_cbranch_execz .LBB6_425
; %bb.421:                              ;   in Loop: Header=BB6_310 Depth=3
	v_ashrrev_i32_e32 v53, 31, v68
	v_lshlrev_b32_e32 v54, 5, v67
	s_delay_alu instid0(VALU_DEP_2) | instskip(NEXT) | instid1(VALU_DEP_1)
	v_lshrrev_b32_e32 v53, 27, v53
	v_add_nc_u32_e32 v53, v68, v53
	s_delay_alu instid0(VALU_DEP_1) | instskip(NEXT) | instid1(VALU_DEP_1)
	v_and_b32_e32 v53, 0xffffffe0, v53
	v_sub_nc_u32_e32 v53, v68, v53
	s_delay_alu instid0(VALU_DEP_1) | instskip(NEXT) | instid1(VALU_DEP_1)
	v_sub_nc_u32_e32 v53, v53, v54
	v_ashrrev_i32_e32 v54, 31, v53
	s_delay_alu instid0(VALU_DEP_1) | instskip(NEXT) | instid1(VALU_DEP_1)
	v_lshrrev_b32_e32 v54, 27, v54
	v_add_nc_u32_e32 v54, v53, v54
	s_delay_alu instid0(VALU_DEP_1) | instskip(SKIP_1) | instid1(VALU_DEP_2)
	v_and_b32_e32 v55, 0x1fffffe0, v54
	v_lshlrev_b32_e32 v54, 3, v54
	v_sub_nc_u32_e32 v53, v53, v55
	s_delay_alu instid0(VALU_DEP_2) | instskip(NEXT) | instid1(VALU_DEP_2)
	v_and_b32_e32 v54, 0xffffff00, v54
	v_lshlrev_b32_e32 v53, 3, v53
	s_delay_alu instid0(VALU_DEP_1) | instskip(NEXT) | instid1(VALU_DEP_1)
	v_add3_u32 v52, v54, v53, v52
	v_sub_nc_u32_e32 v2, v2, v52
	s_delay_alu instid0(VALU_DEP_1)
	v_cmp_lt_i32_e32 vcc_lo, 7, v2
	s_and_b32 exec_lo, exec_lo, vcc_lo
	s_cbranch_execz .LBB6_425
; %bb.422:                              ;   in Loop: Header=BB6_310 Depth=3
	s_cbranch_execnz .LBB6_1774
; %bb.423:                              ;   in Loop: Header=BB6_310 Depth=3
	ds_load_b128 v[67:70], v0
	ds_load_b64 v[64:65], v0
	v_add_nc_u32_e32 v11, v52, v11
	s_mov_b32 s15, 0
	s_delay_alu instid0(VALU_DEP_1) | instskip(SKIP_2) | instid1(VALU_DEP_2)
	v_ashrrev_i32_e32 v71, 31, v11
	s_waitcnt lgkmcnt(1)
	v_add_co_u32 v52, vcc_lo, v67, v11
	v_add_co_ci_u32_e32 v53, vcc_lo, v68, v71, vcc_lo
	v_add_co_u32 v54, vcc_lo, v69, v11
	v_add_co_ci_u32_e32 v55, vcc_lo, v70, v71, vcc_lo
	s_waitcnt lgkmcnt(0)
	v_add_co_u32 v64, vcc_lo, v64, v11
	v_add_co_ci_u32_e32 v65, vcc_lo, v65, v71, vcc_lo
	s_set_inst_prefetch_distance 0x1
.LBB6_424:                              ;   Parent Loop BB6_51 Depth=1
                                        ;     Parent Loop BB6_308 Depth=2
                                        ;       Parent Loop BB6_310 Depth=3
                                        ; =>      This Inner Loop Header: Depth=4
	flat_load_b64 v[67:68], v[54:55] slc dlc
	flat_load_b64 v[69:70], v[52:53] slc dlc
	v_add_co_u32 v52, vcc_lo, v52, v116
	v_sub_nc_u32_e32 v2, v2, v101
	v_add_co_ci_u32_e32 v53, vcc_lo, v53, v117, vcc_lo
	v_add_co_u32 v54, vcc_lo, v54, v116
	v_add_co_ci_u32_e32 v55, vcc_lo, v55, v117, vcc_lo
	s_delay_alu instid0(VALU_DEP_4)
	v_cmp_gt_i32_e32 vcc_lo, 8, v2
	s_or_b32 s15, vcc_lo, s15
	s_waitcnt vmcnt(1) lgkmcnt(1)
	v_max_f64 v[67:68], v[67:68], v[67:68]
	s_waitcnt vmcnt(0) lgkmcnt(0)
	v_max_f64 v[69:70], v[69:70], v[69:70]
	s_delay_alu instid0(VALU_DEP_1) | instskip(SKIP_1) | instid1(VALU_DEP_1)
	v_min_f64 v[131:132], v[69:70], v[67:68]
	v_max_f64 v[67:68], v[69:70], v[67:68]
	v_cndmask_b32_e64 v68, v132, v68, s13
	s_delay_alu instid0(VALU_DEP_2) | instskip(SKIP_2) | instid1(VALU_DEP_1)
	v_cndmask_b32_e64 v67, v131, v67, s13
	flat_store_b64 v[64:65], v[67:68] glc slc dlc
	v_add_co_u32 v64, s14, v64, v116
	v_add_co_ci_u32_e64 v65, s14, v65, v117, s14
	s_and_not1_b32 exec_lo, exec_lo, s15
	s_cbranch_execnz .LBB6_424
.LBB6_425:                              ;   in Loop: Header=BB6_310 Depth=3
	s_set_inst_prefetch_distance 0x2
	s_or_b32 exec_lo, exec_lo, s2
.LBB6_426:                              ;   in Loop: Header=BB6_310 Depth=3
	s_delay_alu instid0(SALU_CYCLE_1)
	s_or_b32 exec_lo, exec_lo, s6
.LBB6_427:                              ;   in Loop: Header=BB6_310 Depth=3
	s_and_saveexec_b32 s6, s3
	s_cbranch_execz .LBB6_449
; %bb.428:                              ;   in Loop: Header=BB6_310 Depth=3
	s_and_saveexec_b32 s2, s4
	s_delay_alu instid0(SALU_CYCLE_1)
	s_xor_b32 s2, exec_lo, s2
	s_cbranch_execz .LBB6_446
; %bb.429:                              ;   in Loop: Header=BB6_310 Depth=3
	s_and_saveexec_b32 s13, s1
	s_cbranch_execz .LBB6_445
; %bb.430:                              ;   in Loop: Header=BB6_310 Depth=3
	s_mov_b32 s15, exec_lo
	s_mov_b32 s14, exec_lo
	v_mbcnt_lo_u32_b32 v2, s15, 0
	s_waitcnt lgkmcnt(0)
	s_waitcnt_vscnt null, 0x0
	buffer_gl1_inv
	buffer_gl0_inv
	v_cmpx_eq_u32_e32 0, v2
	s_cbranch_execz .LBB6_432
; %bb.431:                              ;   in Loop: Header=BB6_310 Depth=3
	s_bcnt1_i32_b32 s15, s15
	s_delay_alu instid0(SALU_CYCLE_1)
	v_mov_b32_e32 v2, s15
	ds_add_u64 v0, v[2:3]
	s_cbranch_execnz .LBB6_1734
.LBB6_432:                              ;   in Loop: Header=BB6_310 Depth=3
	s_or_b32 exec_lo, exec_lo, s14
	s_cbranch_execnz .LBB6_1704
; %bb.433:                              ;   in Loop: Header=BB6_310 Depth=3
	ds_load_b64 v[52:53], v0
	v_add_co_u32 v12, vcc_lo, v12, v83
	v_add_co_ci_u32_e32 v13, vcc_lo, 0, v13, vcc_lo
	s_mov_b32 s14, exec_lo
	s_waitcnt lgkmcnt(0)
	s_delay_alu instid0(VALU_DEP_1)
	v_cmpx_lt_u64_e64 v[52:53], v[12:13]
	s_cbranch_execz .LBB6_444
; %bb.434:                              ;   in Loop: Header=BB6_310 Depth=3
	s_mov_b32 s15, 0
	s_mov_b32 s37, 0
                                        ; implicit-def: $sgpr20
                                        ; implicit-def: $sgpr28
	s_branch .LBB6_436
.LBB6_435:                              ;   in Loop: Header=BB6_436 Depth=4
	s_or_b32 exec_lo, exec_lo, s39
	s_delay_alu instid0(SALU_CYCLE_1) | instskip(NEXT) | instid1(SALU_CYCLE_1)
	s_and_b32 vcc_lo, exec_lo, vcc_lo
	s_or_b32 s15, vcc_lo, s15
	s_and_not1_b32 s20, s20, exec_lo
	s_and_b32 vcc_lo, s28, exec_lo
	s_delay_alu instid0(SALU_CYCLE_1)
	s_or_b32 s20, s20, vcc_lo
	s_and_not1_b32 exec_lo, exec_lo, s15
	s_cbranch_execz .LBB6_442
.LBB6_436:                              ;   Parent Loop BB6_51 Depth=1
                                        ;     Parent Loop BB6_308 Depth=2
                                        ;       Parent Loop BB6_310 Depth=3
                                        ; =>      This Inner Loop Header: Depth=4
	s_add_i32 s37, s37, 1
                                        ; implicit-def: $sgpr39
	s_delay_alu instid0(SALU_CYCLE_1) | instskip(SKIP_1) | instid1(SALU_CYCLE_1)
	s_cmpk_lg_i32 s37, 0x2710
	s_cselect_b32 s38, -1, 0
	s_and_b32 vcc_lo, exec_lo, s38
	s_cbranch_vccz .LBB6_440
.LBB6_437:                              ;   in Loop: Header=BB6_436 Depth=4
	s_and_not1_b32 s28, s28, exec_lo
	s_and_b32 s39, s39, exec_lo
	s_mov_b32 vcc_lo, -1
	s_or_b32 s28, s28, s39
	s_and_saveexec_b32 s39, s38
	s_cbranch_execz .LBB6_435
; %bb.438:                              ;   in Loop: Header=BB6_436 Depth=4
	s_sleep 1
	s_cbranch_execnz .LBB6_1786
; %bb.439:                              ;   in Loop: Header=BB6_436 Depth=4
	ds_load_b64 v[52:53], v0
	s_and_not1_b32 s28, s28, exec_lo
	s_waitcnt lgkmcnt(0)
	v_cmp_ge_u64_e32 vcc_lo, v[52:53], v[12:13]
	s_or_not1_b32 vcc_lo, vcc_lo, exec_lo
	s_branch .LBB6_435
.LBB6_440:                              ;   in Loop: Header=BB6_436 Depth=4
	s_cbranch_execnz .LBB6_1802
; %bb.441:                              ;   in Loop: Header=BB6_436 Depth=4
	ds_load_b64 v[52:53], v0
	s_and_not1_b32 s38, s38, exec_lo
	s_mov_b32 s37, 0
	s_mov_b32 s39, -1
	s_waitcnt lgkmcnt(0)
	flat_load_b32 v2, v[52:53] glc
	s_waitcnt vmcnt(0) lgkmcnt(0)
	buffer_gl1_inv
	buffer_gl0_inv
	v_cmp_eq_u32_e32 vcc_lo, 0, v2
	s_and_b32 vcc_lo, vcc_lo, exec_lo
	s_delay_alu instid0(SALU_CYCLE_1)
	s_or_b32 s38, s38, vcc_lo
	s_branch .LBB6_437
.LBB6_442:                              ;   in Loop: Header=BB6_310 Depth=3
	s_or_b32 exec_lo, exec_lo, s15
	s_and_saveexec_b32 s15, s20
	s_delay_alu instid0(SALU_CYCLE_1)
	s_xor_b32 s15, exec_lo, s15
	s_cbranch_execz .LBB6_444
; %bb.443:                              ;   in Loop: Header=BB6_310 Depth=3
	ds_store_b32 v0, v130
	s_cbranch_execnz .LBB6_1922
.LBB6_444:                              ;   in Loop: Header=BB6_310 Depth=3
	s_or_b32 exec_lo, exec_lo, s14
	;;#ASMSTART
	s_wakeup
	;;#ASMEND
.LBB6_445:                              ;   in Loop: Header=BB6_310 Depth=3
	s_or_b32 exec_lo, exec_lo, s13
.LBB6_446:                              ;   in Loop: Header=BB6_310 Depth=3
	s_and_not1_saveexec_b32 s2, s2
	s_cbranch_execz .LBB6_448
; %bb.447:                              ;   in Loop: Header=BB6_310 Depth=3
	s_waitcnt lgkmcnt(0)
	s_waitcnt_vscnt null, 0x0
	buffer_gl1_inv
	buffer_gl0_inv
	s_barrier
.LBB6_448:                              ;   in Loop: Header=BB6_310 Depth=3
	s_or_b32 exec_lo, exec_lo, s2
.LBB6_449:                              ;   in Loop: Header=BB6_310 Depth=3
	s_delay_alu instid0(SALU_CYCLE_1) | instskip(SKIP_1) | instid1(SALU_CYCLE_1)
	s_or_b32 exec_lo, exec_lo, s6
                                        ; implicit-def: $vgpr2
	s_and_saveexec_b32 s2, s7
	s_xor_b32 s2, exec_lo, s2
	s_cbranch_execz .LBB6_453
; %bb.450:                              ;   in Loop: Header=BB6_310 Depth=3
	v_and_b32_e32 v2, 16, v30
	v_cmp_lt_i32_e32 vcc_lo, 0, v9
	s_delay_alu instid0(VALU_DEP_2) | instskip(SKIP_1) | instid1(VALU_DEP_2)
	v_cmp_ne_u32_e64 s13, 0, v2
	v_and_b32_e32 v2, 16, v30
	s_and_b32 s13, s13, vcc_lo
	s_delay_alu instid0(SALU_CYCLE_1)
	s_and_saveexec_b32 s6, s13
	s_cbranch_execz .LBB6_452
; %bb.451:                              ;   in Loop: Header=BB6_310 Depth=3
	v_mov_b32_e32 v2, 1
	s_waitcnt lgkmcnt(0)
	s_waitcnt_vscnt null, 0x0
	buffer_gl1_inv
	buffer_gl0_inv
.LBB6_452:                              ;   in Loop: Header=BB6_310 Depth=3
	s_or_b32 exec_lo, exec_lo, s6
.LBB6_453:                              ;   in Loop: Header=BB6_310 Depth=3
	s_and_not1_saveexec_b32 s6, s2
	s_cbranch_execz .LBB6_475
; %bb.454:                              ;   in Loop: Header=BB6_310 Depth=3
	s_and_saveexec_b32 s2, s4
	s_delay_alu instid0(SALU_CYCLE_1)
	s_xor_b32 s2, exec_lo, s2
	s_cbranch_execz .LBB6_472
; %bb.455:                              ;   in Loop: Header=BB6_310 Depth=3
	s_and_saveexec_b32 s13, s1
	s_cbranch_execz .LBB6_471
; %bb.456:                              ;   in Loop: Header=BB6_310 Depth=3
	s_mov_b32 s15, exec_lo
	s_mov_b32 s14, exec_lo
	v_mbcnt_lo_u32_b32 v2, s15, 0
	;;#ASMSTART
	s_waitcnt lgkmcnt(0) vmcnt(0)
	;;#ASMEND
	s_delay_alu instid0(VALU_DEP_1)
	v_cmpx_eq_u32_e32 0, v2
	s_cbranch_execz .LBB6_458
; %bb.457:                              ;   in Loop: Header=BB6_310 Depth=3
	s_bcnt1_i32_b32 s15, s15
	s_delay_alu instid0(SALU_CYCLE_1)
	v_mov_b32_e32 v2, s15
	ds_add_u64 v0, v[2:3]
	s_cbranch_execnz .LBB6_1746
.LBB6_458:                              ;   in Loop: Header=BB6_310 Depth=3
	s_or_b32 exec_lo, exec_lo, s14
	s_cbranch_execnz .LBB6_1716
; %bb.459:                              ;   in Loop: Header=BB6_310 Depth=3
	ds_load_b64 v[52:53], v0
	v_add_co_u32 v12, vcc_lo, v12, v83
	v_add_co_ci_u32_e32 v13, vcc_lo, 0, v13, vcc_lo
	s_mov_b32 s14, exec_lo
	s_waitcnt lgkmcnt(0)
	s_delay_alu instid0(VALU_DEP_1)
	v_cmpx_lt_u64_e64 v[52:53], v[12:13]
	s_cbranch_execz .LBB6_470
; %bb.460:                              ;   in Loop: Header=BB6_310 Depth=3
	s_mov_b32 s15, 0
	s_mov_b32 s37, 0
                                        ; implicit-def: $sgpr20
                                        ; implicit-def: $sgpr28
	s_branch .LBB6_462
.LBB6_461:                              ;   in Loop: Header=BB6_462 Depth=4
	s_or_b32 exec_lo, exec_lo, s39
	s_delay_alu instid0(SALU_CYCLE_1) | instskip(NEXT) | instid1(SALU_CYCLE_1)
	s_and_b32 vcc_lo, exec_lo, vcc_lo
	s_or_b32 s15, vcc_lo, s15
	s_and_not1_b32 s20, s20, exec_lo
	s_and_b32 vcc_lo, s28, exec_lo
	s_delay_alu instid0(SALU_CYCLE_1)
	s_or_b32 s20, s20, vcc_lo
	s_and_not1_b32 exec_lo, exec_lo, s15
	s_cbranch_execz .LBB6_468
.LBB6_462:                              ;   Parent Loop BB6_51 Depth=1
                                        ;     Parent Loop BB6_308 Depth=2
                                        ;       Parent Loop BB6_310 Depth=3
                                        ; =>      This Inner Loop Header: Depth=4
	s_add_i32 s37, s37, 1
                                        ; implicit-def: $sgpr39
	s_delay_alu instid0(SALU_CYCLE_1) | instskip(SKIP_1) | instid1(SALU_CYCLE_1)
	s_cmpk_lg_i32 s37, 0x2710
	s_cselect_b32 s38, -1, 0
	s_and_b32 vcc_lo, exec_lo, s38
	s_cbranch_vccz .LBB6_466
.LBB6_463:                              ;   in Loop: Header=BB6_462 Depth=4
	s_and_not1_b32 s28, s28, exec_lo
	s_and_b32 s39, s39, exec_lo
	s_mov_b32 vcc_lo, -1
	s_or_b32 s28, s28, s39
	s_and_saveexec_b32 s39, s38
	s_cbranch_execz .LBB6_461
; %bb.464:                              ;   in Loop: Header=BB6_462 Depth=4
	s_sleep 1
	s_cbranch_execnz .LBB6_1798
; %bb.465:                              ;   in Loop: Header=BB6_462 Depth=4
	ds_load_b64 v[52:53], v0
	s_and_not1_b32 s28, s28, exec_lo
	s_waitcnt lgkmcnt(0)
	v_cmp_ge_u64_e32 vcc_lo, v[52:53], v[12:13]
	s_or_not1_b32 vcc_lo, vcc_lo, exec_lo
	s_branch .LBB6_461
.LBB6_466:                              ;   in Loop: Header=BB6_462 Depth=4
	s_cbranch_execnz .LBB6_1816
; %bb.467:                              ;   in Loop: Header=BB6_462 Depth=4
	ds_load_b64 v[52:53], v0
	s_and_not1_b32 s38, s38, exec_lo
	s_mov_b32 s37, 0
	s_mov_b32 s39, -1
	s_waitcnt lgkmcnt(0)
	s_waitcnt_vscnt null, 0x0
	flat_load_b32 v2, v[52:53] glc
	s_waitcnt vmcnt(0) lgkmcnt(0)
	buffer_gl1_inv
	buffer_gl0_inv
	v_cmp_eq_u32_e32 vcc_lo, 0, v2
	s_and_b32 vcc_lo, vcc_lo, exec_lo
	s_delay_alu instid0(SALU_CYCLE_1)
	s_or_b32 s38, s38, vcc_lo
	s_branch .LBB6_463
.LBB6_468:                              ;   in Loop: Header=BB6_310 Depth=3
	s_or_b32 exec_lo, exec_lo, s15
	s_and_saveexec_b32 s15, s20
	s_delay_alu instid0(SALU_CYCLE_1)
	s_xor_b32 s15, exec_lo, s15
	s_cbranch_execz .LBB6_470
; %bb.469:                              ;   in Loop: Header=BB6_310 Depth=3
	ds_store_b32 v0, v130
	s_cbranch_execnz .LBB6_1930
.LBB6_470:                              ;   in Loop: Header=BB6_310 Depth=3
	s_or_b32 exec_lo, exec_lo, s14
	;;#ASMSTART
	s_wakeup
	;;#ASMEND
.LBB6_471:                              ;   in Loop: Header=BB6_310 Depth=3
	s_or_b32 exec_lo, exec_lo, s13
.LBB6_472:                              ;   in Loop: Header=BB6_310 Depth=3
	s_and_not1_saveexec_b32 s2, s2
	s_cbranch_execz .LBB6_474
; %bb.473:                              ;   in Loop: Header=BB6_310 Depth=3
	;;#ASMSTART
	s_waitcnt lgkmcnt(0) vmcnt(0)
	;;#ASMEND
	s_waitcnt lgkmcnt(0)
	s_waitcnt_vscnt null, 0x0
	s_barrier
.LBB6_474:                              ;   in Loop: Header=BB6_310 Depth=3
	s_or_b32 exec_lo, exec_lo, s2
	v_and_b32_e32 v2, 16, v30
.LBB6_475:                              ;   in Loop: Header=BB6_310 Depth=3
	s_or_b32 exec_lo, exec_lo, s6
	s_delay_alu instid0(VALU_DEP_1) | instskip(SKIP_1) | instid1(SALU_CYCLE_1)
	v_cmp_ne_u32_e32 vcc_lo, 0, v2
	s_xor_b32 s2, s10, -1
	s_and_b32 s6, vcc_lo, s2
	s_delay_alu instid0(SALU_CYCLE_1)
	s_and_saveexec_b32 s2, s6
	s_cbranch_execz .LBB6_477
; %bb.476:                              ;   in Loop: Header=BB6_310 Depth=3
	s_waitcnt lgkmcnt(0)
	s_waitcnt_vscnt null, 0x0
	flat_store_b32 v[26:27], v130
.LBB6_477:                              ;   in Loop: Header=BB6_310 Depth=3
	s_or_b32 exec_lo, exec_lo, s2
	v_and_b32_e32 v2, 48, v30
	s_mov_b32 s2, exec_lo
	s_delay_alu instid0(VALU_DEP_1)
	v_cmpx_ne_u32_e32 0, v2
	s_cbranch_execz .LBB6_479
; %bb.478:                              ;   in Loop: Header=BB6_310 Depth=3
	v_add_co_u32 v22, vcc_lo, v22, 2
	v_add_co_ci_u32_e32 v23, vcc_lo, 0, v23, vcc_lo
	s_waitcnt lgkmcnt(0)
	s_waitcnt_vscnt null, 0x0
	flat_store_b64 v[20:21], v[22:23]
.LBB6_479:                              ;   in Loop: Header=BB6_310 Depth=3
	s_or_b32 exec_lo, exec_lo, s2
	v_add_nc_u32_e32 v10, v8, v10
	v_readlane_b32 s2, v47, 15
	s_mov_b32 s14, s5
	s_mov_b32 s13, 2
	;; [unrolled: 1-line block ×3, first 2 shown]
	v_cmp_ge_i32_e32 vcc_lo, v10, v66
	s_xor_b32 s2, s2, -1
	s_mov_b32 s20, s12
	s_or_b32 s2, s2, vcc_lo
	s_delay_alu instid0(SALU_CYCLE_1) | instskip(SKIP_2) | instid1(VALU_DEP_1)
	s_and_b32 s6, exec_lo, s2
	v_readlane_b32 s2, v47, 14
	s_or_b32 s30, s6, s30
	v_mov_b32_e32 v2, s2
	s_mov_b32 s2, s36
	s_and_not1_b32 exec_lo, exec_lo, s30
	s_cbranch_execnz .LBB6_310
; %bb.480:                              ;   in Loop: Header=BB6_308 Depth=2
	s_or_b32 exec_lo, exec_lo, s30
	s_mov_b32 s13, s20
.LBB6_481:                              ;   in Loop: Header=BB6_308 Depth=2
	s_or_b32 exec_lo, exec_lo, s17
	s_delay_alu instid0(SALU_CYCLE_1)
	s_mov_b32 s5, exec_lo
	v_cmpx_gt_i32_e32 2, v2
	s_cbranch_execz .LBB6_565
; %bb.482:                              ;   in Loop: Header=BB6_308 Depth=2
	v_cmp_eq_u32_e64 s30, 0, v2
	s_mov_b32 s12, 0
.LBB6_483:                              ;   Parent Loop BB6_51 Depth=1
                                        ;     Parent Loop BB6_308 Depth=2
                                        ; =>    This Loop Header: Depth=3
                                        ;         Child Loop BB6_489 Depth 4
                                        ;         Child Loop BB6_519 Depth 4
	;; [unrolled: 1-line block ×3, first 2 shown]
	v_and_b32_e32 v2, 12, v30
	s_mov_b32 s28, -1
	s_mov_b32 s6, exec_lo
	s_delay_alu instid0(VALU_DEP_1)
	v_cmpx_ne_u32_e32 0, v2
	s_cbranch_execz .LBB6_497
; %bb.484:                              ;   in Loop: Header=BB6_483 Depth=3
	v_dual_mov_b32 v9, 1 :: v_dual_and_b32 v2, 8, v30
	s_mov_b32 s15, s29
	s_mov_b32 s17, s34
	;; [unrolled: 1-line block ×3, first 2 shown]
	s_delay_alu instid0(VALU_DEP_1) | instskip(SKIP_4) | instid1(VALU_DEP_1)
	v_add_co_u32 v52, vcc_lo, v28, v2
	v_add_co_ci_u32_e32 v53, vcc_lo, 0, v29, vcc_lo
	v_add_co_u32 v50, vcc_lo, v22, 2
	v_add_co_ci_u32_e32 v51, vcc_lo, 0, v23, vcc_lo
	s_mov_b32 s28, exec_lo
	v_cmpx_lt_u64_e64 v[52:53], v[50:51]
	s_cbranch_execz .LBB6_496
; %bb.485:                              ;   in Loop: Header=BB6_483 Depth=3
	v_mov_b32_e32 v9, 0
	s_mov_b32 s29, 0
                                        ; implicit-def: $sgpr31
	s_branch .LBB6_489
.LBB6_486:                              ;   in Loop: Header=BB6_489 Depth=4
	s_or_b32 exec_lo, exec_lo, s38
	v_mov_b32_e32 v11, 0
	s_or_not1_b32 s37, s37, exec_lo
.LBB6_487:                              ;   in Loop: Header=BB6_489 Depth=4
	s_or_b32 exec_lo, exec_lo, s36
	s_delay_alu instid0(VALU_DEP_1) | instskip(SKIP_2) | instid1(SALU_CYCLE_1)
	v_mov_b32_e32 v9, v11
	s_and_not1_b32 vcc_lo, s31, exec_lo
	s_and_b32 s31, s37, exec_lo
	s_or_b32 s31, vcc_lo, s31
.LBB6_488:                              ;   in Loop: Header=BB6_489 Depth=4
	s_or_b32 exec_lo, exec_lo, s34
	s_waitcnt vmcnt(0) lgkmcnt(0)
	v_add_co_u32 v52, vcc_lo, v28, v2
	v_add_co_ci_u32_e32 v53, vcc_lo, 0, v29, vcc_lo
	s_xor_b32 s34, s31, -1
	s_delay_alu instid0(VALU_DEP_1) | instskip(SKIP_1) | instid1(SALU_CYCLE_1)
	v_cmp_ge_u64_e32 vcc_lo, v[52:53], v[50:51]
	s_or_b32 vcc_lo, s34, vcc_lo
	s_and_b32 vcc_lo, exec_lo, vcc_lo
	s_delay_alu instid0(SALU_CYCLE_1) | instskip(NEXT) | instid1(SALU_CYCLE_1)
	s_or_b32 s29, vcc_lo, s29
	s_and_not1_b32 exec_lo, exec_lo, s29
	s_cbranch_execz .LBB6_495
.LBB6_489:                              ;   Parent Loop BB6_51 Depth=1
                                        ;     Parent Loop BB6_308 Depth=2
                                        ;       Parent Loop BB6_483 Depth=3
                                        ; =>      This Inner Loop Header: Depth=4
	s_sleep 1
	flat_load_b64 v[28:29], v[20:21] glc
	v_and_b32_e32 v11, 64, v30
	s_and_not1_b32 s31, s31, exec_lo
	s_mov_b32 s34, exec_lo
	s_delay_alu instid0(VALU_DEP_1)
	v_cmpx_eq_u32_e32 0, v11
	s_cbranch_execz .LBB6_488
; %bb.490:                              ;   in Loop: Header=BB6_489 Depth=4
	v_add_nc_u32_e32 v11, 1, v9
	s_mov_b32 s37, -1
	s_mov_b32 s36, exec_lo
	v_cmpx_lt_i32_e32 0x270e, v9
	s_cbranch_execz .LBB6_487
; %bb.491:                              ;   in Loop: Header=BB6_489 Depth=4
	s_cbranch_execnz .LBB6_1520
; %bb.492:                              ;   in Loop: Header=BB6_489 Depth=4
	ds_load_b64 v[52:53], v0
	s_mov_b32 s38, exec_lo
	s_waitcnt vmcnt(0) lgkmcnt(0)
	s_waitcnt_vscnt null, 0x0
	flat_load_b32 v9, v[52:53] glc
	s_waitcnt vmcnt(0) lgkmcnt(0)
	buffer_gl1_inv
	buffer_gl0_inv
	v_cmpx_ne_u32_e32 0, v9
	s_cbranch_execz .LBB6_486
; %bb.493:                              ;   in Loop: Header=BB6_489 Depth=4
	ds_store_b32 v0, v9
	s_cbranch_execnz .LBB6_1568
; %bb.494:                              ;   in Loop: Header=BB6_489 Depth=4
	v_or_b32_e32 v30, 64, v30
	s_xor_b32 s37, exec_lo, -1
	s_branch .LBB6_486
.LBB6_495:                              ;   in Loop: Header=BB6_483 Depth=3
	s_or_b32 exec_lo, exec_lo, s29
	v_and_b32_e32 v9, 12, v30
.LBB6_496:                              ;   in Loop: Header=BB6_483 Depth=3
	s_or_b32 exec_lo, exec_lo, s28
	s_delay_alu instid0(VALU_DEP_1)
	v_cmp_eq_u32_e32 vcc_lo, 0, v9
	s_mov_b32 s31, s20
	s_mov_b32 s34, s17
	;; [unrolled: 1-line block ×3, first 2 shown]
	;;#ASMSTART
	s_wakeup
	;;#ASMEND
	s_or_not1_b32 s28, vcc_lo, exec_lo
.LBB6_497:                              ;   in Loop: Header=BB6_483 Depth=3
	s_or_b32 exec_lo, exec_lo, s6
	v_sub_nc_u32_e32 v2, v66, v10
	s_xor_b32 s6, s30, -1
	s_delay_alu instid0(SALU_CYCLE_1) | instskip(NEXT) | instid1(SALU_CYCLE_1)
	s_and_b32 s6, exec_lo, s6
	s_or_b32 s12, s6, s12
	s_delay_alu instid0(VALU_DEP_1) | instskip(SKIP_1) | instid1(SALU_CYCLE_1)
	v_min_i32_e32 v8, v8, v2
	s_xor_b32 s6, s28, -1
	s_and_saveexec_b32 s20, s6
	s_cbranch_execz .LBB6_510
; %bb.498:                              ;   in Loop: Header=BB6_483 Depth=3
	v_and_b32_e32 v2, 0x108, v30
	s_mov_b32 s15, s7
	s_mov_b32 s6, s3
	s_mov_b32 s17, s4
	s_mov_b32 s3, s29
	v_cmp_ne_u32_e32 vcc_lo, 0x108, v2
	v_and_b32_e32 v2, 7, v22
	s_mov_b32 s7, s2
	s_mov_b32 s2, s13
	s_and_saveexec_b32 s13, vcc_lo
	s_delay_alu instid0(SALU_CYCLE_1) | instskip(NEXT) | instid1(SALU_CYCLE_1)
	s_xor_b32 s13, exec_lo, s13
	s_and_not1_saveexec_b32 s13, s13
	s_cbranch_execz .LBB6_500
; %bb.499:                              ;   in Loop: Header=BB6_483 Depth=3
	v_ashrrev_i32_e32 v9, 31, v8
	v_mad_u64_u32 v[50:51], null, v2, 24, v[6:7]
	s_delay_alu instid0(VALU_DEP_2)
	v_lshlrev_b64 v[52:53], 3, v[8:9]
	flat_store_b64 v[50:51], v[52:53] offset:8
.LBB6_500:                              ;   in Loop: Header=BB6_483 Depth=3
	s_or_b32 exec_lo, exec_lo, s13
	v_and_b32_e32 v9, 0x100, v30
	s_mov_b32 s13, -1
	s_mov_b32 s29, exec_lo
                                        ; implicit-def: $vgpr50_vgpr51
	s_delay_alu instid0(VALU_DEP_1)
	v_cmpx_ne_u32_e32 0, v9
	s_cbranch_execnz .LBB6_503
; %bb.501:                              ;   in Loop: Header=BB6_483 Depth=3
	s_or_b32 exec_lo, exec_lo, s29
	s_and_saveexec_b32 s29, s13
	s_cbranch_execnz .LBB6_506
.LBB6_502:                              ;   in Loop: Header=BB6_483 Depth=3
	s_or_b32 exec_lo, exec_lo, s29
	s_cbranch_execnz .LBB6_1512
	s_branch .LBB6_507
.LBB6_503:                              ;   in Loop: Header=BB6_483 Depth=3
	v_mad_u64_u32 v[52:53], null, v2, 24, v[6:7]
	s_mov_b32 s30, exec_lo
	s_delay_alu instid0(VALU_DEP_1) | instskip(NEXT) | instid1(VALU_DEP_1)
	v_mov_b32_e32 v9, v53
	v_mad_u64_u32 v[50:51], null, v3, 24, v[9:10]
	s_delay_alu instid0(VALU_DEP_1)
	v_mov_b32_e32 v53, v50
                                        ; implicit-def: $vgpr50_vgpr51
	flat_load_b32 v9, v[52:53]
	s_waitcnt vmcnt(0) lgkmcnt(0)
	v_cmp_ne_u32_e32 vcc_lo, 1, v9
	v_cmpx_eq_u32_e32 1, v9
	s_cbranch_execz .LBB6_505
; %bb.504:                              ;   in Loop: Header=BB6_483 Depth=3
	flat_load_b32 v50, v[52:53] offset:4 glc
	s_waitcnt vmcnt(0) lgkmcnt(0)
	v_ashrrev_i32_e32 v51, 31, v50
	s_delay_alu instid0(VALU_DEP_1)
	v_lshrrev_b64 v[50:51], 3, v[50:51]
.LBB6_505:                              ;   in Loop: Header=BB6_483 Depth=3
	s_or_b32 exec_lo, exec_lo, s30
	s_delay_alu instid0(SALU_CYCLE_1)
	s_or_not1_b32 s13, vcc_lo, exec_lo
	s_or_b32 exec_lo, exec_lo, s29
	s_and_saveexec_b32 s29, s13
	s_cbranch_execz .LBB6_502
.LBB6_506:                              ;   in Loop: Header=BB6_483 Depth=3
	v_mul_lo_u32 v9, v3, v81
	v_mul_lo_u32 v11, v2, v82
	v_mad_u64_u32 v[50:51], null, v2, v81, 0
	s_delay_alu instid0(VALU_DEP_1)
	v_add3_u32 v51, v51, v11, v9
	s_or_b32 exec_lo, exec_lo, s29
	s_cbranch_execnz .LBB6_1512
.LBB6_507:                              ;   in Loop: Header=BB6_483 Depth=3
	s_delay_alu instid0(VALU_DEP_1) | instskip(SKIP_2) | instid1(VALU_DEP_2)
	v_lshlrev_b64 v[50:51], 3, v[50:51]
	v_and_b32_e32 v2, 0x2000, v30
	s_mov_b32 s13, exec_lo
	v_add_co_u32 v50, vcc_lo, v24, v50
	s_delay_alu instid0(VALU_DEP_3)
	v_add_co_ci_u32_e32 v51, vcc_lo, v25, v51, vcc_lo
	ds_store_b64 v0, v[50:51]
	v_cmpx_ne_u32_e32 0, v2
	s_cbranch_execz .LBB6_509
; %bb.508:                              ;   in Loop: Header=BB6_483 Depth=3
	ds_load_b64 v[50:51], v0 offset:584
	s_waitcnt lgkmcnt(0)
	v_add_co_u32 v50, vcc_lo, v50, 1
	v_add_co_ci_u32_e32 v51, vcc_lo, 0, v51, vcc_lo
	ds_store_b64 v0, v[50:51] offset:584
.LBB6_509:                              ;   in Loop: Header=BB6_483 Depth=3
	s_or_b32 exec_lo, exec_lo, s13
	v_add_co_u32 v22, vcc_lo, v22, 2
	v_add_co_ci_u32_e32 v23, vcc_lo, 0, v23, vcc_lo
	s_mov_b32 s13, s2
	s_mov_b32 s2, s7
	;; [unrolled: 1-line block ×6, first 2 shown]
.LBB6_510:                              ;   in Loop: Header=BB6_483 Depth=3
	s_or_b32 exec_lo, exec_lo, s20
	s_mov_b32 s15, s13
	s_mov_b32 s6, s34
	;; [unrolled: 1-line block ×4, first 2 shown]
	s_and_saveexec_b32 s13, s3
	s_cbranch_execz .LBB6_532
; %bb.511:                              ;   in Loop: Header=BB6_483 Depth=3
	s_and_saveexec_b32 s3, s4
	s_delay_alu instid0(SALU_CYCLE_1)
	s_xor_b32 s3, exec_lo, s3
	s_cbranch_execz .LBB6_529
; %bb.512:                              ;   in Loop: Header=BB6_483 Depth=3
	s_and_saveexec_b32 s20, s1
	s_cbranch_execz .LBB6_528
; %bb.513:                              ;   in Loop: Header=BB6_483 Depth=3
	s_mov_b32 s30, exec_lo
	s_mov_b32 s28, exec_lo
	v_mbcnt_lo_u32_b32 v2, s30, 0
	s_waitcnt lgkmcnt(0)
	s_waitcnt_vscnt null, 0x0
	buffer_gl1_inv
	buffer_gl0_inv
	v_cmpx_eq_u32_e32 0, v2
	s_cbranch_execz .LBB6_515
; %bb.514:                              ;   in Loop: Header=BB6_483 Depth=3
	s_bcnt1_i32_b32 vcc_lo, s30
	s_delay_alu instid0(SALU_CYCLE_1)
	v_mov_b32_e32 v2, vcc_lo
	ds_add_u64 v0, v[2:3]
	s_cbranch_execnz .LBB6_1624
.LBB6_515:                              ;   in Loop: Header=BB6_483 Depth=3
	s_or_b32 exec_lo, exec_lo, s28
	s_cbranch_execnz .LBB6_1590
; %bb.516:                              ;   in Loop: Header=BB6_483 Depth=3
	ds_load_b64 v[50:51], v0
	v_add_co_u32 v12, vcc_lo, v12, v83
	v_add_co_ci_u32_e32 v13, vcc_lo, 0, v13, vcc_lo
	s_mov_b32 s28, exec_lo
	s_waitcnt lgkmcnt(0)
	s_delay_alu instid0(VALU_DEP_1)
	v_cmpx_lt_u64_e64 v[50:51], v[12:13]
	s_cbranch_execz .LBB6_527
; %bb.517:                              ;   in Loop: Header=BB6_483 Depth=3
	s_mov_b32 s30, 0
	s_mov_b32 s37, 0
                                        ; implicit-def: $sgpr31
                                        ; implicit-def: $sgpr34
	s_branch .LBB6_519
.LBB6_518:                              ;   in Loop: Header=BB6_519 Depth=4
	s_or_b32 exec_lo, exec_lo, s39
	s_delay_alu instid0(SALU_CYCLE_1) | instskip(NEXT) | instid1(SALU_CYCLE_1)
	s_and_b32 vcc_lo, exec_lo, vcc_lo
	s_or_b32 s30, vcc_lo, s30
	s_and_not1_b32 vcc_lo, s31, exec_lo
	s_and_b32 s31, s34, exec_lo
	s_delay_alu instid0(SALU_CYCLE_1)
	s_or_b32 s31, vcc_lo, s31
	s_and_not1_b32 exec_lo, exec_lo, s30
	s_cbranch_execz .LBB6_525
.LBB6_519:                              ;   Parent Loop BB6_51 Depth=1
                                        ;     Parent Loop BB6_308 Depth=2
                                        ;       Parent Loop BB6_483 Depth=3
                                        ; =>      This Inner Loop Header: Depth=4
	s_add_i32 s37, s37, 1
                                        ; implicit-def: $sgpr39
	s_delay_alu instid0(SALU_CYCLE_1) | instskip(SKIP_1) | instid1(SALU_CYCLE_1)
	s_cmpk_lg_i32 s37, 0x2710
	s_cselect_b32 s38, -1, 0
	s_and_b32 vcc_lo, exec_lo, s38
	s_cbranch_vccz .LBB6_523
.LBB6_520:                              ;   in Loop: Header=BB6_519 Depth=4
	s_and_not1_b32 s34, s34, exec_lo
	s_and_b32 s39, s39, exec_lo
	s_mov_b32 vcc_lo, -1
	s_or_b32 s34, s34, s39
	s_and_saveexec_b32 s39, s38
	s_cbranch_execz .LBB6_518
; %bb.521:                              ;   in Loop: Header=BB6_519 Depth=4
	s_sleep 1
	s_cbranch_execnz .LBB6_1672
; %bb.522:                              ;   in Loop: Header=BB6_519 Depth=4
	ds_load_b64 v[50:51], v0
	s_and_not1_b32 s34, s34, exec_lo
	s_waitcnt lgkmcnt(0)
	v_cmp_ge_u64_e32 vcc_lo, v[50:51], v[12:13]
	s_or_not1_b32 vcc_lo, vcc_lo, exec_lo
	s_branch .LBB6_518
.LBB6_523:                              ;   in Loop: Header=BB6_519 Depth=4
	s_cbranch_execnz .LBB6_1680
; %bb.524:                              ;   in Loop: Header=BB6_519 Depth=4
	ds_load_b64 v[50:51], v0
	s_and_not1_b32 s38, s38, exec_lo
	s_mov_b32 s37, 0
	s_mov_b32 s39, -1
	s_waitcnt lgkmcnt(0)
	flat_load_b32 v2, v[50:51] glc
	s_waitcnt vmcnt(0) lgkmcnt(0)
	buffer_gl1_inv
	buffer_gl0_inv
	v_cmp_eq_u32_e32 vcc_lo, 0, v2
	s_and_b32 vcc_lo, vcc_lo, exec_lo
	s_delay_alu instid0(SALU_CYCLE_1)
	s_or_b32 s38, s38, vcc_lo
	s_branch .LBB6_520
.LBB6_525:                              ;   in Loop: Header=BB6_483 Depth=3
	s_or_b32 exec_lo, exec_lo, s30
	s_and_saveexec_b32 vcc_lo, s31
	s_delay_alu instid0(SALU_CYCLE_1)
	s_xor_b32 vcc_lo, exec_lo, vcc_lo
	s_cbranch_execz .LBB6_527
; %bb.526:                              ;   in Loop: Header=BB6_483 Depth=3
	ds_store_b32 v0, v130
	s_cbranch_execnz .LBB6_1882
.LBB6_527:                              ;   in Loop: Header=BB6_483 Depth=3
	s_or_b32 exec_lo, exec_lo, s28
	;;#ASMSTART
	s_wakeup
	;;#ASMEND
.LBB6_528:                              ;   in Loop: Header=BB6_483 Depth=3
	s_or_b32 exec_lo, exec_lo, s20
.LBB6_529:                              ;   in Loop: Header=BB6_483 Depth=3
	s_and_not1_saveexec_b32 s3, s3
	s_cbranch_execz .LBB6_531
; %bb.530:                              ;   in Loop: Header=BB6_483 Depth=3
	s_waitcnt lgkmcnt(0)
	s_waitcnt_vscnt null, 0x0
	buffer_gl1_inv
	buffer_gl0_inv
	s_barrier
.LBB6_531:                              ;   in Loop: Header=BB6_483 Depth=3
	s_or_b32 exec_lo, exec_lo, s3
.LBB6_532:                              ;   in Loop: Header=BB6_483 Depth=3
	s_delay_alu instid0(SALU_CYCLE_1) | instskip(NEXT) | instid1(SALU_CYCLE_1)
	s_or_b32 exec_lo, exec_lo, s13
                                        ; implicit-def: $vgpr2
	s_mov_b32 s13, exec_lo
	v_readlane_b32 s3, v47, 2
	s_delay_alu instid0(VALU_DEP_1) | instskip(NEXT) | instid1(SALU_CYCLE_1)
	s_and_b32 s3, s13, s3
	s_xor_b32 s13, s3, s13
	s_mov_b32 exec_lo, s3
	s_cbranch_execz .LBB6_554
; %bb.533:                              ;   in Loop: Header=BB6_483 Depth=3
	s_and_saveexec_b32 s3, s4
	s_delay_alu instid0(SALU_CYCLE_1)
	s_xor_b32 s3, exec_lo, s3
	s_cbranch_execz .LBB6_551
; %bb.534:                              ;   in Loop: Header=BB6_483 Depth=3
	s_and_saveexec_b32 s20, s1
	s_cbranch_execz .LBB6_550
; %bb.535:                              ;   in Loop: Header=BB6_483 Depth=3
	s_mov_b32 s30, exec_lo
	s_mov_b32 s28, exec_lo
	v_mbcnt_lo_u32_b32 v2, s30, 0
	;;#ASMSTART
	s_waitcnt lgkmcnt(0) vmcnt(0)
	;;#ASMEND
	s_delay_alu instid0(VALU_DEP_1)
	v_cmpx_eq_u32_e32 0, v2
	s_cbranch_execz .LBB6_537
; %bb.536:                              ;   in Loop: Header=BB6_483 Depth=3
	s_bcnt1_i32_b32 vcc_lo, s30
	s_delay_alu instid0(SALU_CYCLE_1)
	v_mov_b32_e32 v2, vcc_lo
	ds_add_u64 v0, v[2:3]
	s_cbranch_execnz .LBB6_1634
.LBB6_537:                              ;   in Loop: Header=BB6_483 Depth=3
	s_or_b32 exec_lo, exec_lo, s28
	s_cbranch_execnz .LBB6_1600
; %bb.538:                              ;   in Loop: Header=BB6_483 Depth=3
	ds_load_b64 v[50:51], v0
	v_add_co_u32 v12, vcc_lo, v12, v83
	v_add_co_ci_u32_e32 v13, vcc_lo, 0, v13, vcc_lo
	s_mov_b32 s28, exec_lo
	s_waitcnt lgkmcnt(0)
	s_delay_alu instid0(VALU_DEP_1)
	v_cmpx_lt_u64_e64 v[50:51], v[12:13]
	s_cbranch_execz .LBB6_549
; %bb.539:                              ;   in Loop: Header=BB6_483 Depth=3
	s_mov_b32 s30, 0
	s_mov_b32 s37, 0
                                        ; implicit-def: $sgpr31
                                        ; implicit-def: $sgpr34
	s_branch .LBB6_541
.LBB6_540:                              ;   in Loop: Header=BB6_541 Depth=4
	s_or_b32 exec_lo, exec_lo, s39
	s_delay_alu instid0(SALU_CYCLE_1) | instskip(NEXT) | instid1(SALU_CYCLE_1)
	s_and_b32 vcc_lo, exec_lo, vcc_lo
	s_or_b32 s30, vcc_lo, s30
	s_and_not1_b32 vcc_lo, s31, exec_lo
	s_and_b32 s31, s34, exec_lo
	s_delay_alu instid0(SALU_CYCLE_1)
	s_or_b32 s31, vcc_lo, s31
	s_and_not1_b32 exec_lo, exec_lo, s30
	s_cbranch_execz .LBB6_547
.LBB6_541:                              ;   Parent Loop BB6_51 Depth=1
                                        ;     Parent Loop BB6_308 Depth=2
                                        ;       Parent Loop BB6_483 Depth=3
                                        ; =>      This Inner Loop Header: Depth=4
	s_add_i32 s37, s37, 1
                                        ; implicit-def: $sgpr39
	s_delay_alu instid0(SALU_CYCLE_1) | instskip(SKIP_1) | instid1(SALU_CYCLE_1)
	s_cmpk_lg_i32 s37, 0x2710
	s_cselect_b32 s38, -1, 0
	s_and_b32 vcc_lo, exec_lo, s38
	s_cbranch_vccz .LBB6_545
.LBB6_542:                              ;   in Loop: Header=BB6_541 Depth=4
	s_and_not1_b32 s34, s34, exec_lo
	s_and_b32 s39, s39, exec_lo
	s_mov_b32 vcc_lo, -1
	s_or_b32 s34, s34, s39
	s_and_saveexec_b32 s39, s38
	s_cbranch_execz .LBB6_540
; %bb.543:                              ;   in Loop: Header=BB6_541 Depth=4
	s_sleep 1
	s_cbranch_execnz .LBB6_1674
; %bb.544:                              ;   in Loop: Header=BB6_541 Depth=4
	ds_load_b64 v[50:51], v0
	s_and_not1_b32 s34, s34, exec_lo
	s_waitcnt lgkmcnt(0)
	v_cmp_ge_u64_e32 vcc_lo, v[50:51], v[12:13]
	s_or_not1_b32 vcc_lo, vcc_lo, exec_lo
	s_branch .LBB6_540
.LBB6_545:                              ;   in Loop: Header=BB6_541 Depth=4
	s_cbranch_execnz .LBB6_1690
; %bb.546:                              ;   in Loop: Header=BB6_541 Depth=4
	ds_load_b64 v[50:51], v0
	s_and_not1_b32 s38, s38, exec_lo
	s_mov_b32 s37, 0
	s_mov_b32 s39, -1
	s_waitcnt lgkmcnt(0)
	s_waitcnt_vscnt null, 0x0
	flat_load_b32 v2, v[50:51] glc
	s_waitcnt vmcnt(0) lgkmcnt(0)
	buffer_gl1_inv
	buffer_gl0_inv
	v_cmp_eq_u32_e32 vcc_lo, 0, v2
	s_and_b32 vcc_lo, vcc_lo, exec_lo
	s_delay_alu instid0(SALU_CYCLE_1)
	s_or_b32 s38, s38, vcc_lo
	s_branch .LBB6_542
.LBB6_547:                              ;   in Loop: Header=BB6_483 Depth=3
	s_or_b32 exec_lo, exec_lo, s30
	s_and_saveexec_b32 vcc_lo, s31
	s_delay_alu instid0(SALU_CYCLE_1)
	s_xor_b32 vcc_lo, exec_lo, vcc_lo
	s_cbranch_execz .LBB6_549
; %bb.548:                              ;   in Loop: Header=BB6_483 Depth=3
	ds_store_b32 v0, v130
	s_cbranch_execnz .LBB6_1886
.LBB6_549:                              ;   in Loop: Header=BB6_483 Depth=3
	s_or_b32 exec_lo, exec_lo, s28
	;;#ASMSTART
	s_wakeup
	;;#ASMEND
.LBB6_550:                              ;   in Loop: Header=BB6_483 Depth=3
	s_or_b32 exec_lo, exec_lo, s20
.LBB6_551:                              ;   in Loop: Header=BB6_483 Depth=3
	s_and_not1_saveexec_b32 s3, s3
	s_cbranch_execz .LBB6_553
; %bb.552:                              ;   in Loop: Header=BB6_483 Depth=3
	;;#ASMSTART
	s_waitcnt lgkmcnt(0) vmcnt(0)
	;;#ASMEND
	s_waitcnt lgkmcnt(0)
	s_waitcnt_vscnt null, 0x0
	s_barrier
.LBB6_553:                              ;   in Loop: Header=BB6_483 Depth=3
	s_or_b32 exec_lo, exec_lo, s3
	v_and_b32_e32 v2, 16, v30
.LBB6_554:                              ;   in Loop: Header=BB6_483 Depth=3
	s_and_not1_saveexec_b32 s3, s13
	s_cbranch_execz .LBB6_559
; %bb.555:                              ;   in Loop: Header=BB6_483 Depth=3
	s_cbranch_execnz .LBB6_1534
; %bb.556:                              ;   in Loop: Header=BB6_483 Depth=3
	ds_load_b32 v2, v0
	v_cmp_lt_i32_e32 vcc_lo, 0, v8
	s_waitcnt lgkmcnt(0)
	v_readfirstlane_b32 s13, v2
	v_and_b32_e32 v2, 16, v30
	s_delay_alu instid0(VALU_DEP_2) | instskip(NEXT) | instid1(VALU_DEP_1)
	s_cmp_eq_u32 s13, 0
	v_cmp_ne_u32_e64 s13, 0, v2
	s_cselect_b32 s20, -1, 0
	v_and_b32_e32 v2, 16, v30
	s_and_b32 s20, vcc_lo, s20
	s_delay_alu instid0(VALU_DEP_2) | instid1(SALU_CYCLE_1)
	s_and_b32 s20, s13, s20
	s_delay_alu instid0(SALU_CYCLE_1)
	s_and_saveexec_b32 s13, s20
	s_cbranch_execz .LBB6_558
; %bb.557:                              ;   in Loop: Header=BB6_483 Depth=3
	v_mov_b32_e32 v2, 1
	s_waitcnt_vscnt null, 0x0
	buffer_gl1_inv
	buffer_gl0_inv
.LBB6_558:                              ;   in Loop: Header=BB6_483 Depth=3
	s_or_b32 exec_lo, exec_lo, s13
.LBB6_559:                              ;   in Loop: Header=BB6_483 Depth=3
	s_delay_alu instid0(SALU_CYCLE_1) | instskip(NEXT) | instid1(VALU_DEP_1)
	s_or_b32 exec_lo, exec_lo, s3
	v_cmp_ne_u32_e32 vcc_lo, 0, v2
	s_xor_b32 s3, s10, -1
	s_delay_alu instid0(SALU_CYCLE_1) | instskip(NEXT) | instid1(SALU_CYCLE_1)
	s_and_b32 s13, vcc_lo, s3
	s_and_saveexec_b32 s3, s13
	s_cbranch_execz .LBB6_561
; %bb.560:                              ;   in Loop: Header=BB6_483 Depth=3
	s_waitcnt lgkmcnt(0)
	s_waitcnt_vscnt null, 0x0
	flat_store_b32 v[26:27], v130
.LBB6_561:                              ;   in Loop: Header=BB6_483 Depth=3
	s_or_b32 exec_lo, exec_lo, s3
	v_and_b32_e32 v2, 48, v30
	s_mov_b32 s3, exec_lo
	s_delay_alu instid0(VALU_DEP_1)
	v_cmpx_ne_u32_e32 0, v2
	s_cbranch_execz .LBB6_563
; %bb.562:                              ;   in Loop: Header=BB6_483 Depth=3
	v_add_co_u32 v22, vcc_lo, v22, 2
	v_add_co_ci_u32_e32 v23, vcc_lo, 0, v23, vcc_lo
	s_waitcnt lgkmcnt(0)
	s_waitcnt_vscnt null, 0x0
	flat_store_b64 v[20:21], v[22:23]
.LBB6_563:                              ;   in Loop: Header=BB6_483 Depth=3
	s_or_b32 exec_lo, exec_lo, s3
	v_add_nc_u32_e32 v10, v8, v10
	s_mov_b32 s30, 0
	s_mov_b32 s31, s17
	;; [unrolled: 1-line block ×5, first 2 shown]
	s_and_not1_b32 exec_lo, exec_lo, s12
	s_cbranch_execnz .LBB6_483
; %bb.564:                              ;   in Loop: Header=BB6_308 Depth=2
	s_or_b32 exec_lo, exec_lo, s12
.LBB6_565:                              ;   in Loop: Header=BB6_308 Depth=2
	s_delay_alu instid0(SALU_CYCLE_1) | instskip(SKIP_1) | instid1(SALU_CYCLE_1)
	s_or_b32 exec_lo, exec_lo, s5
	s_add_i32 s16, s16, 1
	s_cmp_eq_u32 s16, s19
	s_cbranch_scc0 .LBB6_308
; %bb.566:                              ;   in Loop: Header=BB6_51 Depth=1
	v_readlane_b32 s12, v47, 4
	v_readlane_b32 s5, v47, 3
.LBB6_567:                              ;   in Loop: Header=BB6_51 Depth=1
	v_mul_lo_u32 v2, v37, s19
	v_mul_lo_u32 v10, v36, s21
	v_mad_u64_u32 v[8:9], null, v36, s19, 0
	v_mov_b32_e32 v52, 0
	s_mov_b32 s20, 0
	s_delay_alu instid0(VALU_DEP_2) | instskip(NEXT) | instid1(VALU_DEP_3)
	v_add3_u32 v9, v9, v10, v2
	v_sub_co_u32 v10, vcc_lo, v38, v8
	s_delay_alu instid0(VALU_DEP_2) | instskip(NEXT) | instid1(VALU_DEP_1)
	v_sub_co_ci_u32_e32 v11, vcc_lo, v39, v9, vcc_lo
	v_cmp_lt_i64_e32 vcc_lo, v[36:37], v[10:11]
	v_cndmask_b32_e32 v10, v10, v36, vcc_lo
	s_delay_alu instid0(VALU_DEP_1) | instskip(NEXT) | instid1(VALU_DEP_1)
	v_max_i32_e32 v131, 0, v10
	v_add_nc_u32_e32 v2, 31, v131
	s_delay_alu instid0(VALU_DEP_1) | instskip(NEXT) | instid1(VALU_DEP_1)
	v_lshrrev_b32_e32 v2, 1, v2
	v_and_b32_e32 v11, 0x3ffffff0, v2
	v_cmp_lt_i32_e32 vcc_lo, 0, v10
	v_mov_b32_e32 v2, 0
	s_delay_alu instid0(VALU_DEP_3) | instskip(SKIP_1) | instid1(SALU_CYCLE_1)
	v_max_i32_e32 v50, s25, v11
	s_and_b32 s15, s34, vcc_lo
	s_and_saveexec_b32 s6, s15
	s_cbranch_execz .LBB6_781
; %bb.568:                              ;   in Loop: Header=BB6_51 Depth=1
	v_add_co_u32 v8, vcc_lo, v8, v48
	v_add_co_ci_u32_e32 v9, vcc_lo, v9, v49, vcc_lo
	v_mov_b32_e32 v52, 0
	s_mov_b32 s16, 1
	s_mov_b32 s17, -1
	s_delay_alu instid0(VALU_DEP_2)
	v_lshlrev_b64 v[54:55], 3, v[8:9]
	v_writelane_b32 v47, s6, 5
.LBB6_569:                              ;   Parent Loop BB6_51 Depth=1
                                        ; =>  This Loop Header: Depth=2
                                        ;       Child Loop BB6_578 Depth 3
                                        ;       Child Loop BB6_608 Depth 3
	;; [unrolled: 1-line block ×5, first 2 shown]
                                        ;         Child Loop BB6_666 Depth 4
                                        ;       Child Loop BB6_678 Depth 3
                                        ;       Child Loop BB6_684 Depth 3
                                        ;         Child Loop BB6_685 Depth 4
                                        ;       Child Loop BB6_701 Depth 3
                                        ;       Child Loop BB6_707 Depth 3
	;; [unrolled: 1-line block ×6, first 2 shown]
	s_and_saveexec_b32 s6, s0
	s_cbranch_execz .LBB6_572
; %bb.570:                              ;   in Loop: Header=BB6_569 Depth=2
	s_cbranch_execnz .LBB6_1502
; %bb.571:                              ;   in Loop: Header=BB6_569 Depth=2
	ds_load_2addr_b64 v[8:11], v0 offset1:1
	ds_load_b64 v[64:65], v0
	v_ashrrev_i32_e32 v53, 31, v52
	s_mov_b32 s15, s13
	s_delay_alu instid0(VALU_DEP_1)
	v_lshlrev_b64 v[66:67], 3, v[52:53]
	s_waitcnt lgkmcnt(1)
	v_add_co_u32 v2, vcc_lo, v8, v54
	v_add_co_ci_u32_e32 v9, vcc_lo, v9, v55, vcc_lo
	v_add_co_u32 v10, vcc_lo, v10, v54
	v_add_co_ci_u32_e32 v11, vcc_lo, v11, v55, vcc_lo
	s_waitcnt lgkmcnt(0)
	v_add_co_u32 v51, vcc_lo, v64, v54
	v_add_co_ci_u32_e32 v53, vcc_lo, v65, v55, vcc_lo
	v_add_co_u32 v8, vcc_lo, v2, v66
	v_add_co_ci_u32_e32 v9, vcc_lo, v9, v67, vcc_lo
	s_delay_alu instid0(VALU_DEP_4) | instskip(NEXT) | instid1(VALU_DEP_4)
	v_add_co_u32 v2, vcc_lo, v51, v66
	v_add_co_ci_u32_e32 v51, vcc_lo, v53, v67, vcc_lo
	v_cmp_ne_u64_e32 vcc_lo, 0, v[64:65]
	v_add_co_u32 v10, s13, v10, v66
	s_delay_alu instid0(VALU_DEP_1)
	v_add_co_ci_u32_e64 v11, s13, v11, v67, s13
	s_mov_b32 s13, s15
	v_dual_cndmask_b32 v65, 0, v51 :: v_dual_cndmask_b32 v64, 0, v2
	ds_store_b64 v0, v[8:9]
	ds_store_b64 v0, v[10:11]
	;; [unrolled: 1-line block ×3, first 2 shown]
.LBB6_572:                              ;   in Loop: Header=BB6_569 Depth=2
	s_or_b32 exec_lo, exec_lo, s6
	v_and_b32_e32 v2, 12, v30
	s_mov_b32 s30, -1
	s_mov_b32 s6, exec_lo
	s_delay_alu instid0(VALU_DEP_1)
	v_cmpx_ne_u32_e32 0, v2
	s_cbranch_execz .LBB6_586
; %bb.573:                              ;   in Loop: Header=BB6_569 Depth=2
	v_and_b32_e32 v2, 8, v30
	s_mov_b32 s15, s29
	s_mov_b32 s28, s34
	;; [unrolled: 1-line block ×3, first 2 shown]
	s_delay_alu instid0(VALU_DEP_1) | instskip(SKIP_3) | instid1(VALU_DEP_1)
	v_add_co_u32 v10, vcc_lo, v28, v2
	v_add_co_ci_u32_e32 v11, vcc_lo, 0, v29, vcc_lo
	v_add_co_u32 v8, vcc_lo, v22, 2
	v_add_co_ci_u32_e32 v9, vcc_lo, 0, v23, vcc_lo
	v_cmp_lt_u64_e32 vcc_lo, v[10:11], v[8:9]
	v_mov_b32_e32 v10, 1
	s_and_saveexec_b32 s30, vcc_lo
	s_cbranch_execz .LBB6_585
; %bb.574:                              ;   in Loop: Header=BB6_569 Depth=2
	v_mov_b32_e32 v10, 0
	s_mov_b32 s31, 0
                                        ; implicit-def: $sgpr34
	s_branch .LBB6_578
.LBB6_575:                              ;   in Loop: Header=BB6_578 Depth=3
	s_or_b32 exec_lo, exec_lo, s39
	v_mov_b32_e32 v11, 0
	s_or_not1_b32 s38, s38, exec_lo
.LBB6_576:                              ;   in Loop: Header=BB6_578 Depth=3
	s_or_b32 exec_lo, exec_lo, s37
	s_delay_alu instid0(VALU_DEP_1) | instskip(SKIP_2) | instid1(SALU_CYCLE_1)
	v_mov_b32_e32 v10, v11
	s_and_not1_b32 vcc_lo, s34, exec_lo
	s_and_b32 s34, s38, exec_lo
	s_or_b32 s34, vcc_lo, s34
.LBB6_577:                              ;   in Loop: Header=BB6_578 Depth=3
	s_or_b32 exec_lo, exec_lo, s36
	s_waitcnt vmcnt(0) lgkmcnt(0)
	v_add_co_u32 v64, vcc_lo, v28, v2
	v_add_co_ci_u32_e32 v65, vcc_lo, 0, v29, vcc_lo
	s_xor_b32 s36, s34, -1
	s_delay_alu instid0(VALU_DEP_1) | instskip(SKIP_1) | instid1(SALU_CYCLE_1)
	v_cmp_ge_u64_e32 vcc_lo, v[64:65], v[8:9]
	s_or_b32 vcc_lo, s36, vcc_lo
	s_and_b32 vcc_lo, exec_lo, vcc_lo
	s_delay_alu instid0(SALU_CYCLE_1) | instskip(NEXT) | instid1(SALU_CYCLE_1)
	s_or_b32 s31, vcc_lo, s31
	s_and_not1_b32 exec_lo, exec_lo, s31
	s_cbranch_execz .LBB6_584
.LBB6_578:                              ;   Parent Loop BB6_51 Depth=1
                                        ;     Parent Loop BB6_569 Depth=2
                                        ; =>    This Inner Loop Header: Depth=3
	s_sleep 1
	flat_load_b64 v[28:29], v[20:21] glc
	v_and_b32_e32 v11, 64, v30
	s_and_not1_b32 s34, s34, exec_lo
	s_mov_b32 s36, exec_lo
	s_delay_alu instid0(VALU_DEP_1)
	v_cmpx_eq_u32_e32 0, v11
	s_cbranch_execz .LBB6_577
; %bb.579:                              ;   in Loop: Header=BB6_578 Depth=3
	v_add_nc_u32_e32 v11, 1, v10
	s_mov_b32 s38, -1
	s_mov_b32 s37, exec_lo
	v_cmpx_lt_i32_e32 0x270e, v10
	s_cbranch_execz .LBB6_576
; %bb.580:                              ;   in Loop: Header=BB6_578 Depth=3
	s_cbranch_execnz .LBB6_1528
; %bb.581:                              ;   in Loop: Header=BB6_578 Depth=3
	ds_load_b64 v[10:11], v0
	s_mov_b32 s39, exec_lo
	s_waitcnt vmcnt(0) lgkmcnt(0)
	s_waitcnt_vscnt null, 0x0
	flat_load_b32 v10, v[10:11] glc
	s_waitcnt vmcnt(0) lgkmcnt(0)
	buffer_gl1_inv
	buffer_gl0_inv
	v_cmpx_ne_u32_e32 0, v10
	s_cbranch_execz .LBB6_575
; %bb.582:                              ;   in Loop: Header=BB6_578 Depth=3
	ds_store_b32 v0, v10
	s_cbranch_execnz .LBB6_1582
; %bb.583:                              ;   in Loop: Header=BB6_578 Depth=3
	v_or_b32_e32 v30, 64, v30
	s_xor_b32 s38, exec_lo, -1
	s_branch .LBB6_575
.LBB6_584:                              ;   in Loop: Header=BB6_569 Depth=2
	s_or_b32 exec_lo, exec_lo, s31
	v_and_b32_e32 v10, 12, v30
.LBB6_585:                              ;   in Loop: Header=BB6_569 Depth=2
	s_or_b32 exec_lo, exec_lo, s30
	s_delay_alu instid0(VALU_DEP_1)
	v_cmp_eq_u32_e32 vcc_lo, 0, v10
	s_mov_b32 s31, s29
	s_mov_b32 s34, s28
	;; [unrolled: 1-line block ×3, first 2 shown]
	;;#ASMSTART
	s_wakeup
	;;#ASMEND
	s_or_not1_b32 s30, vcc_lo, exec_lo
.LBB6_586:                              ;   in Loop: Header=BB6_569 Depth=2
	s_or_b32 exec_lo, exec_lo, s6
	v_sub_nc_u32_e32 v2, v131, v52
	s_xor_b32 s15, s30, -1
	s_delay_alu instid0(VALU_DEP_1)
	v_min_i32_e32 v50, v50, v2
	s_and_saveexec_b32 s6, s15
	s_cbranch_execz .LBB6_599
; %bb.587:                              ;   in Loop: Header=BB6_569 Depth=2
	v_and_b32_e32 v2, 0x108, v30
	s_mov_b32 vcc_lo, s16
	s_mov_b32 s15, s2
	s_mov_b32 s2, vcc_lo
	s_mov_b32 s30, s26
	v_cmp_ne_u32_e32 vcc_lo, 0x108, v2
	v_and_b32_e32 v2, 7, v22
	s_mov_b32 s26, s22
	s_mov_b32 s22, s1
	s_mov_b32 s1, s17
	s_mov_b32 s36, s21
	s_mov_b32 s28, s23
	s_mov_b32 s23, s7
	s_mov_b32 s16, s3
	s_mov_b32 s17, s4
	s_mov_b32 s21, s29
	s_mov_b32 s7, s5
	s_mov_b32 s5, s1
	s_mov_b32 s3, s13
	s_mov_b32 s4, s31
	s_and_saveexec_b32 s13, vcc_lo
	s_delay_alu instid0(SALU_CYCLE_1) | instskip(NEXT) | instid1(SALU_CYCLE_1)
	s_xor_b32 s13, exec_lo, s13
	s_and_not1_saveexec_b32 s13, s13
	s_cbranch_execz .LBB6_589
; %bb.588:                              ;   in Loop: Header=BB6_569 Depth=2
	v_ashrrev_i32_e32 v51, 31, v50
	v_mad_u64_u32 v[8:9], null, v2, 24, v[6:7]
	s_delay_alu instid0(VALU_DEP_2)
	v_lshlrev_b64 v[10:11], 3, v[50:51]
	flat_store_b64 v[8:9], v[10:11] offset:8
.LBB6_589:                              ;   in Loop: Header=BB6_569 Depth=2
	s_or_b32 exec_lo, exec_lo, s13
	v_and_b32_e32 v8, 0x100, v30
	s_mov_b32 s13, -1
	s_delay_alu instid0(VALU_DEP_1)
	v_cmp_ne_u32_e32 vcc_lo, 0, v8
                                        ; implicit-def: $vgpr8_vgpr9
	s_and_saveexec_b32 s29, vcc_lo
	s_cbranch_execnz .LBB6_592
; %bb.590:                              ;   in Loop: Header=BB6_569 Depth=2
	s_or_b32 exec_lo, exec_lo, s29
	s_and_saveexec_b32 s29, s13
	s_cbranch_execnz .LBB6_595
.LBB6_591:                              ;   in Loop: Header=BB6_569 Depth=2
	s_or_b32 exec_lo, exec_lo, s29
	s_cbranch_execnz .LBB6_1522
	s_branch .LBB6_596
.LBB6_592:                              ;   in Loop: Header=BB6_569 Depth=2
	v_mad_u64_u32 v[10:11], null, v2, 24, v[6:7]
	s_delay_alu instid0(VALU_DEP_1) | instskip(NEXT) | instid1(VALU_DEP_1)
	v_mov_b32_e32 v8, v11
	v_mad_u64_u32 v[64:65], null, v3, 24, v[8:9]
	s_delay_alu instid0(VALU_DEP_1) | instskip(SKIP_4) | instid1(VALU_DEP_1)
	v_mov_b32_e32 v11, v64
	flat_load_b32 v8, v[10:11]
	s_waitcnt vmcnt(0) lgkmcnt(0)
	v_cmp_ne_u32_e32 vcc_lo, 1, v8
	v_cmp_eq_u32_e64 s13, 1, v8
                                        ; implicit-def: $vgpr8_vgpr9
	s_and_saveexec_b32 s31, s13
	s_cbranch_execz .LBB6_594
; %bb.593:                              ;   in Loop: Header=BB6_569 Depth=2
	flat_load_b32 v8, v[10:11] offset:4 glc
	s_waitcnt vmcnt(0) lgkmcnt(0)
	v_ashrrev_i32_e32 v9, 31, v8
	s_delay_alu instid0(VALU_DEP_1)
	v_lshrrev_b64 v[8:9], 3, v[8:9]
.LBB6_594:                              ;   in Loop: Header=BB6_569 Depth=2
	s_or_b32 exec_lo, exec_lo, s31
	s_delay_alu instid0(SALU_CYCLE_1)
	s_or_not1_b32 s13, vcc_lo, exec_lo
	s_or_b32 exec_lo, exec_lo, s29
	s_and_saveexec_b32 s29, s13
	s_cbranch_execz .LBB6_591
.LBB6_595:                              ;   in Loop: Header=BB6_569 Depth=2
	v_mul_lo_u32 v10, v3, v81
	v_mul_lo_u32 v11, v2, v82
	v_mad_u64_u32 v[8:9], null, v2, v81, 0
	s_delay_alu instid0(VALU_DEP_1)
	v_add3_u32 v9, v9, v11, v10
	s_or_b32 exec_lo, exec_lo, s29
	s_cbranch_execnz .LBB6_1522
.LBB6_596:                              ;   in Loop: Header=BB6_569 Depth=2
	s_delay_alu instid0(VALU_DEP_1) | instskip(SKIP_2) | instid1(VALU_DEP_2)
	v_lshlrev_b64 v[8:9], 3, v[8:9]
	v_and_b32_e32 v2, 0x2000, v30
	s_mov_b32 s13, exec_lo
	v_add_co_u32 v8, vcc_lo, v24, v8
	s_delay_alu instid0(VALU_DEP_3)
	v_add_co_ci_u32_e32 v9, vcc_lo, v25, v9, vcc_lo
	ds_store_b64 v0, v[8:9]
	v_cmpx_ne_u32_e32 0, v2
	s_cbranch_execz .LBB6_598
; %bb.597:                              ;   in Loop: Header=BB6_569 Depth=2
	ds_load_b64 v[8:9], v0 offset:584
	s_waitcnt lgkmcnt(0)
	v_add_co_u32 v8, vcc_lo, v8, 1
	v_add_co_ci_u32_e32 v9, vcc_lo, 0, v9, vcc_lo
	ds_store_b64 v0, v[8:9] offset:584
.LBB6_598:                              ;   in Loop: Header=BB6_569 Depth=2
	s_or_b32 exec_lo, exec_lo, s13
	v_add_co_u32 v22, vcc_lo, v22, 2
	v_add_co_ci_u32_e32 v23, vcc_lo, 0, v23, vcc_lo
	s_mov_b32 s1, s5
	s_mov_b32 vcc_lo, s2
	s_mov_b32 s31, s4
	s_mov_b32 s13, s3
	;; [unrolled: 1-line block ×8, first 2 shown]
	s_mov_b32 s16, vcc_lo
	s_mov_b32 s1, s22
	s_mov_b32 s7, s23
	;; [unrolled: 1-line block ×6, first 2 shown]
.LBB6_599:                              ;   in Loop: Header=BB6_569 Depth=2
	v_writelane_b32 v47, s17, 6
	v_writelane_b32 v47, s16, 7
	v_writelane_b32 v47, s20, 8
	v_writelane_b32 v47, s14, 9
	v_writelane_b32 v47, s35, 10
	v_writelane_b32 v47, s31, 11
	v_writelane_b32 v47, s13, 12
	v_writelane_b32 v47, s34, 13
	s_or_b32 exec_lo, exec_lo, s6
	s_and_saveexec_b32 s6, s3
	s_cbranch_execz .LBB6_621
; %bb.600:                              ;   in Loop: Header=BB6_569 Depth=2
	s_and_saveexec_b32 s13, s4
	s_delay_alu instid0(SALU_CYCLE_1)
	s_xor_b32 s13, exec_lo, s13
	s_cbranch_execz .LBB6_618
; %bb.601:                              ;   in Loop: Header=BB6_569 Depth=2
	s_and_saveexec_b32 s14, s1
	s_cbranch_execz .LBB6_617
; %bb.602:                              ;   in Loop: Header=BB6_569 Depth=2
	s_mov_b32 s16, exec_lo
	s_mov_b32 s15, exec_lo
	v_mbcnt_lo_u32_b32 v2, s16, 0
	s_waitcnt lgkmcnt(0)
	s_waitcnt_vscnt null, 0x0
	buffer_gl1_inv
	buffer_gl0_inv
	v_cmpx_eq_u32_e32 0, v2
	s_cbranch_execz .LBB6_604
; %bb.603:                              ;   in Loop: Header=BB6_569 Depth=2
	s_bcnt1_i32_b32 s16, s16
	s_delay_alu instid0(SALU_CYCLE_1)
	v_mov_b32_e32 v2, s16
	ds_add_u64 v0, v[2:3]
	s_cbranch_execnz .LBB6_1638
.LBB6_604:                              ;   in Loop: Header=BB6_569 Depth=2
	s_or_b32 exec_lo, exec_lo, s15
	s_cbranch_execnz .LBB6_1612
; %bb.605:                              ;   in Loop: Header=BB6_569 Depth=2
	ds_load_b64 v[8:9], v0
	v_add_co_u32 v12, vcc_lo, v12, v83
	v_add_co_ci_u32_e32 v13, vcc_lo, 0, v13, vcc_lo
	s_mov_b32 s15, exec_lo
	s_waitcnt lgkmcnt(0)
	s_delay_alu instid0(VALU_DEP_1)
	v_cmpx_lt_u64_e64 v[8:9], v[12:13]
	s_cbranch_execz .LBB6_616
; %bb.606:                              ;   in Loop: Header=BB6_569 Depth=2
	s_mov_b32 s16, 0
	s_mov_b32 s28, 0
                                        ; implicit-def: $sgpr17
                                        ; implicit-def: $sgpr20
	s_branch .LBB6_608
.LBB6_607:                              ;   in Loop: Header=BB6_608 Depth=3
	s_or_b32 exec_lo, exec_lo, s31
	s_delay_alu instid0(SALU_CYCLE_1) | instskip(NEXT) | instid1(SALU_CYCLE_1)
	s_and_b32 vcc_lo, exec_lo, vcc_lo
	s_or_b32 s16, vcc_lo, s16
	s_and_not1_b32 s17, s17, exec_lo
	s_and_b32 vcc_lo, s20, exec_lo
	s_delay_alu instid0(SALU_CYCLE_1)
	s_or_b32 s17, s17, vcc_lo
	s_and_not1_b32 exec_lo, exec_lo, s16
	s_cbranch_execz .LBB6_614
.LBB6_608:                              ;   Parent Loop BB6_51 Depth=1
                                        ;     Parent Loop BB6_569 Depth=2
                                        ; =>    This Inner Loop Header: Depth=3
	s_add_i32 s28, s28, 1
                                        ; implicit-def: $sgpr31
	s_delay_alu instid0(SALU_CYCLE_1) | instskip(SKIP_1) | instid1(SALU_CYCLE_1)
	s_cmpk_lg_i32 s28, 0x2710
	s_cselect_b32 s30, -1, 0
	s_and_b32 vcc_lo, exec_lo, s30
	s_cbranch_vccz .LBB6_612
.LBB6_609:                              ;   in Loop: Header=BB6_608 Depth=3
	s_and_not1_b32 s20, s20, exec_lo
	s_and_b32 s31, s31, exec_lo
	s_mov_b32 vcc_lo, -1
	s_or_b32 s20, s20, s31
	s_and_saveexec_b32 s31, s30
	s_cbranch_execz .LBB6_607
; %bb.610:                              ;   in Loop: Header=BB6_608 Depth=3
	s_sleep 1
	s_cbranch_execnz .LBB6_1682
; %bb.611:                              ;   in Loop: Header=BB6_608 Depth=3
	ds_load_b64 v[8:9], v0
	s_and_not1_b32 s20, s20, exec_lo
	s_waitcnt lgkmcnt(0)
	v_cmp_ge_u64_e32 vcc_lo, v[8:9], v[12:13]
	s_or_not1_b32 vcc_lo, vcc_lo, exec_lo
	s_branch .LBB6_607
.LBB6_612:                              ;   in Loop: Header=BB6_608 Depth=3
	s_cbranch_execnz .LBB6_1694
; %bb.613:                              ;   in Loop: Header=BB6_608 Depth=3
	ds_load_b64 v[8:9], v0
	s_and_not1_b32 s30, s30, exec_lo
	s_mov_b32 s28, 0
	s_mov_b32 s31, -1
	s_waitcnt lgkmcnt(0)
	flat_load_b32 v2, v[8:9] glc
	s_waitcnt vmcnt(0) lgkmcnt(0)
	buffer_gl1_inv
	buffer_gl0_inv
	v_cmp_eq_u32_e32 vcc_lo, 0, v2
	s_and_b32 vcc_lo, vcc_lo, exec_lo
	s_delay_alu instid0(SALU_CYCLE_1)
	s_or_b32 s30, s30, vcc_lo
	s_branch .LBB6_609
.LBB6_614:                              ;   in Loop: Header=BB6_569 Depth=2
	s_or_b32 exec_lo, exec_lo, s16
	s_and_saveexec_b32 s16, s17
	s_delay_alu instid0(SALU_CYCLE_1)
	s_xor_b32 s16, exec_lo, s16
	s_cbranch_execz .LBB6_616
; %bb.615:                              ;   in Loop: Header=BB6_569 Depth=2
	ds_store_b32 v0, v130
	s_cbranch_execnz .LBB6_1892
.LBB6_616:                              ;   in Loop: Header=BB6_569 Depth=2
	s_or_b32 exec_lo, exec_lo, s15
	;;#ASMSTART
	s_wakeup
	;;#ASMEND
.LBB6_617:                              ;   in Loop: Header=BB6_569 Depth=2
	s_or_b32 exec_lo, exec_lo, s14
.LBB6_618:                              ;   in Loop: Header=BB6_569 Depth=2
	s_and_not1_saveexec_b32 s13, s13
	s_cbranch_execz .LBB6_620
; %bb.619:                              ;   in Loop: Header=BB6_569 Depth=2
	s_waitcnt lgkmcnt(0)
	s_waitcnt_vscnt null, 0x0
	buffer_gl1_inv
	buffer_gl0_inv
	s_barrier
.LBB6_620:                              ;   in Loop: Header=BB6_569 Depth=2
	s_or_b32 exec_lo, exec_lo, s13
.LBB6_621:                              ;   in Loop: Header=BB6_569 Depth=2
	s_delay_alu instid0(SALU_CYCLE_1)
	s_or_b32 exec_lo, exec_lo, s6
	s_cbranch_execnz .LBB6_1508
; %bb.622:                              ;   in Loop: Header=BB6_569 Depth=2
	ds_load_b32 v8, v0
	v_and_b32_e32 v2, 0x4000, v30
	s_xor_b32 s6, s2, -1
	s_delay_alu instid0(VALU_DEP_1) | instskip(SKIP_1) | instid1(SALU_CYCLE_1)
	v_cmp_ne_u32_e32 vcc_lo, 0, v2
	s_and_b32 s13, s6, vcc_lo
	s_and_saveexec_b32 s6, s13
	s_cbranch_execz .LBB6_644
; %bb.623:                              ;   in Loop: Header=BB6_569 Depth=2
	s_and_saveexec_b32 s13, s4
	s_delay_alu instid0(SALU_CYCLE_1)
	s_xor_b32 s13, exec_lo, s13
	s_cbranch_execz .LBB6_641
; %bb.624:                              ;   in Loop: Header=BB6_569 Depth=2
	s_and_saveexec_b32 s14, s1
	s_cbranch_execz .LBB6_640
; %bb.625:                              ;   in Loop: Header=BB6_569 Depth=2
	s_mov_b32 s16, exec_lo
	s_mov_b32 s15, exec_lo
	v_mbcnt_lo_u32_b32 v2, s16, 0
	s_waitcnt lgkmcnt(0)
	s_waitcnt_vscnt null, 0x0
	buffer_gl1_inv
	buffer_gl0_inv
	v_cmpx_eq_u32_e32 0, v2
	s_cbranch_execz .LBB6_627
; %bb.626:                              ;   in Loop: Header=BB6_569 Depth=2
	s_bcnt1_i32_b32 s16, s16
	s_delay_alu instid0(SALU_CYCLE_1)
	v_mov_b32_e32 v2, s16
	ds_add_u64 v0, v[2:3]
	s_cbranch_execnz .LBB6_1676
.LBB6_627:                              ;   in Loop: Header=BB6_569 Depth=2
	s_or_b32 exec_lo, exec_lo, s15
	s_cbranch_execnz .LBB6_1648
; %bb.628:                              ;   in Loop: Header=BB6_569 Depth=2
	ds_load_b64 v[9:10], v0
	v_add_co_u32 v12, vcc_lo, v12, v83
	v_add_co_ci_u32_e32 v13, vcc_lo, 0, v13, vcc_lo
	s_mov_b32 s15, exec_lo
	s_waitcnt lgkmcnt(0)
	s_delay_alu instid0(VALU_DEP_1)
	v_cmpx_lt_u64_e64 v[9:10], v[12:13]
	s_cbranch_execz .LBB6_639
; %bb.629:                              ;   in Loop: Header=BB6_569 Depth=2
	s_mov_b32 s16, 0
	s_mov_b32 s28, 0
                                        ; implicit-def: $sgpr17
                                        ; implicit-def: $sgpr20
	s_branch .LBB6_631
.LBB6_630:                              ;   in Loop: Header=BB6_631 Depth=3
	s_or_b32 exec_lo, exec_lo, s31
	s_delay_alu instid0(SALU_CYCLE_1) | instskip(NEXT) | instid1(SALU_CYCLE_1)
	s_and_b32 vcc_lo, exec_lo, vcc_lo
	s_or_b32 s16, vcc_lo, s16
	s_and_not1_b32 s17, s17, exec_lo
	s_and_b32 vcc_lo, s20, exec_lo
	s_delay_alu instid0(SALU_CYCLE_1)
	s_or_b32 s17, s17, vcc_lo
	s_and_not1_b32 exec_lo, exec_lo, s16
	s_cbranch_execz .LBB6_637
.LBB6_631:                              ;   Parent Loop BB6_51 Depth=1
                                        ;     Parent Loop BB6_569 Depth=2
                                        ; =>    This Inner Loop Header: Depth=3
	s_add_i32 s28, s28, 1
                                        ; implicit-def: $sgpr31
	s_delay_alu instid0(SALU_CYCLE_1) | instskip(SKIP_1) | instid1(SALU_CYCLE_1)
	s_cmpk_lg_i32 s28, 0x2710
	s_cselect_b32 s30, -1, 0
	s_and_b32 vcc_lo, exec_lo, s30
	s_cbranch_vccz .LBB6_635
.LBB6_632:                              ;   in Loop: Header=BB6_631 Depth=3
	s_and_not1_b32 s20, s20, exec_lo
	s_and_b32 s31, s31, exec_lo
	s_mov_b32 vcc_lo, -1
	s_or_b32 s20, s20, s31
	s_and_saveexec_b32 s31, s30
	s_cbranch_execz .LBB6_630
; %bb.633:                              ;   in Loop: Header=BB6_631 Depth=3
	s_sleep 1
	s_cbranch_execnz .LBB6_1736
; %bb.634:                              ;   in Loop: Header=BB6_631 Depth=3
	ds_load_b64 v[9:10], v0
	s_and_not1_b32 s20, s20, exec_lo
	s_waitcnt lgkmcnt(0)
	v_cmp_ge_u64_e32 vcc_lo, v[9:10], v[12:13]
	s_or_not1_b32 vcc_lo, vcc_lo, exec_lo
	s_branch .LBB6_630
.LBB6_635:                              ;   in Loop: Header=BB6_631 Depth=3
	s_cbranch_execnz .LBB6_1750
; %bb.636:                              ;   in Loop: Header=BB6_631 Depth=3
	ds_load_b64 v[9:10], v0
	s_and_not1_b32 s30, s30, exec_lo
	s_mov_b32 s28, 0
	s_mov_b32 s31, -1
	s_waitcnt lgkmcnt(0)
	flat_load_b32 v2, v[9:10] glc
	s_waitcnt vmcnt(0) lgkmcnt(0)
	buffer_gl1_inv
	buffer_gl0_inv
	v_cmp_eq_u32_e32 vcc_lo, 0, v2
	s_and_b32 vcc_lo, vcc_lo, exec_lo
	s_delay_alu instid0(SALU_CYCLE_1)
	s_or_b32 s30, s30, vcc_lo
	s_branch .LBB6_632
.LBB6_637:                              ;   in Loop: Header=BB6_569 Depth=2
	s_or_b32 exec_lo, exec_lo, s16
	s_and_saveexec_b32 s16, s17
	s_delay_alu instid0(SALU_CYCLE_1)
	s_xor_b32 s16, exec_lo, s16
	s_cbranch_execz .LBB6_639
; %bb.638:                              ;   in Loop: Header=BB6_569 Depth=2
	ds_store_b32 v0, v130
	s_cbranch_execnz .LBB6_1916
.LBB6_639:                              ;   in Loop: Header=BB6_569 Depth=2
	s_or_b32 exec_lo, exec_lo, s15
	;;#ASMSTART
	s_wakeup
	;;#ASMEND
.LBB6_640:                              ;   in Loop: Header=BB6_569 Depth=2
	s_or_b32 exec_lo, exec_lo, s14
.LBB6_641:                              ;   in Loop: Header=BB6_569 Depth=2
	s_and_not1_saveexec_b32 s13, s13
	s_cbranch_execz .LBB6_643
; %bb.642:                              ;   in Loop: Header=BB6_569 Depth=2
	s_waitcnt lgkmcnt(0)
	s_waitcnt_vscnt null, 0x0
	buffer_gl1_inv
	buffer_gl0_inv
	s_barrier
.LBB6_643:                              ;   in Loop: Header=BB6_569 Depth=2
	s_or_b32 exec_lo, exec_lo, s13
.LBB6_644:                              ;   in Loop: Header=BB6_569 Depth=2
	s_delay_alu instid0(SALU_CYCLE_1)
	s_or_b32 exec_lo, exec_lo, s6
	s_cbranch_execnz .LBB6_1542
; %bb.645:                              ;   in Loop: Header=BB6_569 Depth=2
	ds_load_b64 v[9:10], v0
	v_mov_b32_e32 v51, 0
	s_waitcnt lgkmcnt(0)
	v_cmp_eq_u64_e32 vcc_lo, 0, v[9:10]
	s_or_b32 s6, vcc_lo, vcc_lo
	s_delay_alu instid0(SALU_CYCLE_1)
	s_and_b32 vcc_lo, exec_lo, s6
	s_cbranch_vccnz .LBB6_727
; %bb.646:                              ;   in Loop: Header=BB6_569 Depth=2
	v_cmp_eq_u32_e32 vcc_lo, 0, v8
	s_cbranch_execnz .LBB6_1604
; %bb.647:                              ;   in Loop: Header=BB6_569 Depth=2
	ds_load_b64 v[8:9], v0
	v_cndmask_b32_e32 v51, 0, v50, vcc_lo
	s_mov_b32 s6, -1
	s_delay_alu instid0(VALU_DEP_1)
	v_lshlrev_b32_e32 v2, 3, v51
	s_waitcnt lgkmcnt(0)
	v_cmp_ne_u64_e32 vcc_lo, 0, v[8:9]
	v_readfirstlane_b32 s30, v8
	s_cbranch_vccz .LBB6_689
; %bb.648:                              ;   in Loop: Header=BB6_569 Depth=2
	s_and_saveexec_b32 s13, s12
	s_cbranch_execz .LBB6_650
; %bb.649:                              ;   in Loop: Header=BB6_569 Depth=2
	ds_load_b32 v8, v0 offset:720
	s_waitcnt lgkmcnt(0)
	v_and_b32_e32 v8, 15, v8
	s_delay_alu instid0(VALU_DEP_1)
	v_cmp_eq_u32_e32 vcc_lo, 0, v8
	s_or_not1_b32 s6, vcc_lo, exec_lo
.LBB6_650:                              ;   in Loop: Header=BB6_569 Depth=2
	s_or_b32 exec_lo, exec_lo, s13
	s_and_saveexec_b32 s13, s12
	s_cbranch_execz .LBB6_652
; %bb.651:                              ;   in Loop: Header=BB6_569 Depth=2
	ds_load_b32 v8, v0 offset:784
	s_waitcnt lgkmcnt(0)
	v_and_b32_e32 v8, 15, v8
	s_delay_alu instid0(VALU_DEP_1) | instskip(SKIP_3) | instid1(SALU_CYCLE_1)
	v_cmp_eq_u32_e32 vcc_lo, 0, v8
	s_and_b32 s14, s6, vcc_lo
	s_and_not1_b32 s6, s6, exec_lo
	s_and_b32 s14, s14, exec_lo
	s_or_b32 s6, s6, s14
.LBB6_652:                              ;   in Loop: Header=BB6_569 Depth=2
	s_or_b32 exec_lo, exec_lo, s13
	s_xor_b32 s6, s6, -1
	s_delay_alu instid0(SALU_CYCLE_1) | instskip(SKIP_1) | instid1(VALU_DEP_1)
	v_cndmask_b32_e64 v8, 0, 1, s6
	;;#ASMSTART
	;;#ASMEND
	v_cmp_ne_u32_e32 vcc_lo, 0, v8
	s_mov_b32 s6, -1
	s_cbranch_vccz .LBB6_654
; %bb.653:                              ;   in Loop: Header=BB6_569 Depth=2
	s_bitcmp1_b32 s30, 0
	s_mov_b32 s6, 0
	s_mov_b32 s31, -1
	s_mov_b32 s14, 0
	s_cselect_b32 s13, -1, 0
	s_branch .LBB6_655
.LBB6_654:                              ;   in Loop: Header=BB6_569 Depth=2
	s_mov_b32 s31, 0
                                        ; implicit-def: $sgpr14
                                        ; implicit-def: $sgpr13
.LBB6_655:                              ;   in Loop: Header=BB6_569 Depth=2
	s_and_not1_b32 vcc_lo, exec_lo, s6
	s_cbranch_vccnz .LBB6_673
; %bb.656:                              ;   in Loop: Header=BB6_569 Depth=2
	v_ashrrev_i32_e32 v8, 31, v2
	s_bitcmp1_b32 s30, 0
	s_mov_b32 s6, exec_lo
	s_cselect_b32 s13, -1, 0
	s_delay_alu instid0(VALU_DEP_1) | instskip(NEXT) | instid1(VALU_DEP_1)
	v_lshrrev_b32_e32 v8, 21, v8
	v_add_nc_u32_e32 v8, v2, v8
	s_delay_alu instid0(VALU_DEP_1) | instskip(NEXT) | instid1(VALU_DEP_1)
	v_ashrrev_i32_e32 v53, 11, v8
	v_sub_nc_u32_e32 v69, v53, v84
	s_delay_alu instid0(VALU_DEP_1)
	v_cmpx_lt_i32_e32 0, v69
	s_cbranch_execz .LBB6_661
; %bb.657:                              ;   in Loop: Header=BB6_569 Depth=2
	s_cbranch_execnz .LBB6_1756
; %bb.658:                              ;   in Loop: Header=BB6_569 Depth=2
	ds_load_b128 v[8:11], v0
	s_mov_b32 s15, 0
	s_waitcnt lgkmcnt(0)
	v_add_co_u32 v8, vcc_lo, v8, v118
	v_add_co_ci_u32_e32 v9, vcc_lo, v9, v119, vcc_lo
	v_add_co_u32 v10, vcc_lo, v10, v118
	v_add_co_ci_u32_e32 v11, vcc_lo, v11, v119, vcc_lo
	s_delay_alu instid0(VALU_DEP_3) | instskip(NEXT) | instid1(VALU_DEP_2)
	v_dual_mov_b32 v65, v9 :: v_dual_mov_b32 v64, v8
	v_dual_mov_b32 v67, v11 :: v_dual_mov_b32 v66, v10
.LBB6_659:                              ;   Parent Loop BB6_51 Depth=1
                                        ;     Parent Loop BB6_569 Depth=2
                                        ; =>    This Inner Loop Header: Depth=3
	global_load_b128 v[132:135], v[10:11], off slc dlc
	global_load_b128 v[144:147], v[8:9], off slc dlc
	global_load_b128 v[148:151], v[10:11], off offset:512 slc dlc
	global_load_b128 v[160:163], v[8:9], off offset:512 slc dlc
	;; [unrolled: 1-line block ×6, first 2 shown]
	v_add_co_u32 v8, vcc_lo, v8, v128
	v_sub_nc_u32_e32 v69, v69, v83
	v_add_co_ci_u32_e32 v9, vcc_lo, v9, v129, vcc_lo
	v_add_co_u32 v10, vcc_lo, v10, v128
	v_add_co_ci_u32_e32 v11, vcc_lo, v11, v129, vcc_lo
	s_delay_alu instid0(VALU_DEP_4)
	v_cmp_gt_i32_e32 vcc_lo, 1, v69
	s_or_b32 s15, vcc_lo, s15
	s_waitcnt vmcnt(7)
	v_max_f64 v[70:71], v[132:133], v[132:133]
	s_waitcnt vmcnt(6)
	v_max_f64 v[132:133], v[144:145], v[144:145]
	v_max_f64 v[134:135], v[134:135], v[134:135]
	v_max_f64 v[144:145], v[146:147], v[146:147]
	s_waitcnt vmcnt(5)
	v_max_f64 v[146:147], v[148:149], v[148:149]
	s_waitcnt vmcnt(4)
	v_max_f64 v[148:149], v[160:161], v[160:161]
	v_max_f64 v[150:151], v[150:151], v[150:151]
	v_max_f64 v[160:161], v[162:163], v[162:163]
	s_waitcnt vmcnt(3)
	v_max_f64 v[162:163], v[164:165], v[164:165]
	s_waitcnt vmcnt(2)
	v_max_f64 v[164:165], v[176:177], v[176:177]
	v_max_f64 v[166:167], v[166:167], v[166:167]
	v_max_f64 v[176:177], v[178:179], v[178:179]
	s_waitcnt vmcnt(1)
	v_max_f64 v[178:179], v[180:181], v[180:181]
	s_waitcnt vmcnt(0)
	v_max_f64 v[180:181], v[40:41], v[40:41]
	v_max_f64 v[182:183], v[182:183], v[182:183]
	v_max_f64 v[40:41], v[42:43], v[42:43]
	v_min_f64 v[42:43], v[132:133], v[70:71]
	v_max_f64 v[70:71], v[132:133], v[70:71]
	v_min_f64 v[44:45], v[144:145], v[134:135]
	v_max_f64 v[134:135], v[144:145], v[134:135]
	;; [unrolled: 2-line block ×8, first 2 shown]
	v_cndmask_b32_e64 v133, v43, v71, s13
	v_cndmask_b32_e64 v132, v42, v70, s13
	;; [unrolled: 1-line block ×16, first 2 shown]
	s_clause 0x3
	global_store_b128 v[64:65], v[132:135], off glc slc dlc
	global_store_b128 v[64:65], v[144:147], off offset:512 glc slc dlc
	global_store_b128 v[64:65], v[148:151], off offset:1024 glc slc dlc
	global_store_b128 v[64:65], v[160:163], off offset:1536 glc slc dlc
	s_clause 0x3
	global_store_b128 v[66:67], v[132:135], off glc slc dlc
	global_store_b128 v[66:67], v[144:147], off offset:512 glc slc dlc
	global_store_b128 v[66:67], v[148:151], off offset:1024 glc slc dlc
	global_store_b128 v[66:67], v[160:163], off offset:1536 glc slc dlc
	v_add_co_u32 v64, s14, v64, v128
	s_delay_alu instid0(VALU_DEP_1) | instskip(SKIP_1) | instid1(VALU_DEP_1)
	v_add_co_ci_u32_e64 v65, s14, v65, v129, s14
	v_add_co_u32 v66, s14, v66, v128
	v_add_co_ci_u32_e64 v67, s14, v67, v129, s14
	s_and_not1_b32 exec_lo, exec_lo, s15
	s_cbranch_execnz .LBB6_659
; %bb.660:                              ;   in Loop: Header=BB6_569 Depth=2
	s_or_b32 exec_lo, exec_lo, s15
.LBB6_661:                              ;   in Loop: Header=BB6_569 Depth=2
	s_delay_alu instid0(SALU_CYCLE_1) | instskip(SKIP_2) | instid1(VALU_DEP_1)
	s_or_b32 exec_lo, exec_lo, s6
	v_lshlrev_b32_e32 v132, 11, v53
	s_mov_b32 s6, exec_lo
                                        ; implicit-def: $vgpr53
                                        ; implicit-def: $vgpr68
                                        ; implicit-def: $vgpr70
                                        ; implicit-def: $vgpr8
	v_cmpx_ne_u32_e64 v2, v132
	s_cbranch_execz .LBB6_672
; %bb.662:                              ;   in Loop: Header=BB6_569 Depth=2
	v_lshlrev_b32_e32 v8, 5, v69
	v_sub_nc_u32_e32 v10, v2, v132
	s_mov_b32 s34, exec_lo
	s_delay_alu instid0(VALU_DEP_2) | instskip(NEXT) | instid1(VALU_DEP_2)
	v_sub_nc_u32_e32 v8, v85, v8
	v_ashrrev_i32_e32 v11, 31, v10
	s_delay_alu instid0(VALU_DEP_2) | instskip(NEXT) | instid1(VALU_DEP_2)
	v_ashrrev_i32_e32 v9, 31, v8
	v_lshrrev_b32_e32 v11, 23, v11
	s_delay_alu instid0(VALU_DEP_2) | instskip(NEXT) | instid1(VALU_DEP_2)
	v_lshrrev_b32_e32 v9, 27, v9
	v_add_nc_u32_e32 v11, v10, v11
	s_delay_alu instid0(VALU_DEP_2) | instskip(NEXT) | instid1(VALU_DEP_2)
	v_add_nc_u32_e32 v9, v8, v9
	v_and_b32_e32 v133, 0xfffffe00, v11
	v_ashrrev_i32_e32 v11, 9, v11
	s_delay_alu instid0(VALU_DEP_3) | instskip(NEXT) | instid1(VALU_DEP_3)
	v_and_b32_e32 v53, 0xffffffe0, v9
	v_sub_nc_u32_e32 v135, v10, v133
	v_ashrrev_i32_e32 v9, 5, v9
	s_delay_alu instid0(VALU_DEP_3) | instskip(NEXT) | instid1(VALU_DEP_3)
	v_sub_nc_u32_e32 v134, v8, v53
	v_cmp_lt_i32_e64 s14, 15, v135
	s_delay_alu instid0(VALU_DEP_2) | instskip(NEXT) | instid1(VALU_DEP_2)
	v_lshlrev_b32_e32 v8, 4, v134
	v_add_co_ci_u32_e64 v11, vcc_lo, 0, v11, s14
	s_delay_alu instid0(VALU_DEP_2) | instskip(NEXT) | instid1(VALU_DEP_2)
	v_lshl_add_u32 v8, v9, 9, v8
	v_sub_nc_u32_e32 v144, v11, v9
	s_delay_alu instid0(VALU_DEP_2) | instskip(NEXT) | instid1(VALU_DEP_1)
	v_sub_nc_u32_e32 v53, v10, v8
	v_cmpx_lt_i32_e32 15, v53
	s_cbranch_execz .LBB6_669
; %bb.663:                              ;   in Loop: Header=BB6_569 Depth=2
	s_cbranch_execnz .LBB6_1820
; %bb.664:                              ;   in Loop: Header=BB6_569 Depth=2
	ds_load_b128 v[64:67], v0
	v_add_nc_u32_e32 v8, v8, v132
	s_mov_b32 s20, 0
	s_delay_alu instid0(VALU_DEP_1) | instskip(SKIP_2) | instid1(VALU_DEP_2)
	v_ashrrev_i32_e32 v9, 31, v8
	s_waitcnt lgkmcnt(0)
	v_add_co_u32 v64, vcc_lo, v64, v8
	v_add_co_ci_u32_e32 v65, vcc_lo, v65, v9, vcc_lo
	s_delay_alu instid0(VALU_DEP_1) | instskip(SKIP_2) | instid1(VALU_DEP_1)
	v_mov_b32_e32 v69, v65
	v_add_co_u32 v66, vcc_lo, v66, v8
	v_add_co_ci_u32_e32 v67, vcc_lo, v67, v9, vcc_lo
	v_dual_mov_b32 v68, v64 :: v_dual_mov_b32 v71, v67
	s_delay_alu instid0(VALU_DEP_3)
	v_mov_b32_e32 v70, v66
.LBB6_665:                              ;   Parent Loop BB6_51 Depth=1
                                        ;     Parent Loop BB6_569 Depth=2
                                        ; =>    This Loop Header: Depth=3
                                        ;         Child Loop BB6_666 Depth 4
	global_load_b128 v[8:11], v[70:71], off slc dlc
	global_load_b128 v[145:148], v[68:69], off slc dlc
	s_mov_b64 s[16:17], 0
	s_mov_b32 s15, -1
	s_waitcnt vmcnt(1)
	v_max_f64 v[8:9], v[8:9], v[8:9]
	s_waitcnt vmcnt(0)
	v_max_f64 v[145:146], v[145:146], v[145:146]
	v_max_f64 v[10:11], v[10:11], v[10:11]
	;; [unrolled: 1-line block ×3, first 2 shown]
	s_delay_alu instid0(VALU_DEP_3) | instskip(SKIP_1) | instid1(VALU_DEP_3)
	v_min_f64 v[149:150], v[145:146], v[8:9]
	v_max_f64 v[8:9], v[145:146], v[8:9]
	v_min_f64 v[145:146], v[147:148], v[10:11]
	v_max_f64 v[10:11], v[147:148], v[10:11]
	s_delay_alu instid0(VALU_DEP_3) | instskip(NEXT) | instid1(VALU_DEP_4)
	v_cndmask_b32_e64 v9, v150, v9, s13
	v_cndmask_b32_e64 v8, v149, v8, s13
	s_delay_alu instid0(VALU_DEP_3) | instskip(NEXT) | instid1(VALU_DEP_4)
	v_cndmask_b32_e64 v11, v146, v11, s13
	v_cndmask_b32_e64 v10, v145, v10, s13
.LBB6_666:                              ;   Parent Loop BB6_51 Depth=1
                                        ;     Parent Loop BB6_569 Depth=2
                                        ;       Parent Loop BB6_665 Depth=3
                                        ; =>      This Inner Loop Header: Depth=4
	s_cmp_eq_u32 s16, 0
	v_cndmask_b32_e64 v147, 0, 1, s15
	s_cselect_b32 vcc_lo, -1, 0
	s_cmp_eq_u32 s16, 1
	s_cselect_b32 s15, -1, 0
	s_delay_alu instid0(SALU_CYCLE_1) | instskip(SKIP_1) | instid1(VALU_DEP_2)
	v_cndmask_b32_e64 v145, v64, v66, s15
	v_cndmask_b32_e64 v146, v65, v67, s15
	v_add_co_u32 v148, s16, 0x200, v145
	s_delay_alu instid0(VALU_DEP_1) | instskip(SKIP_1) | instid1(VALU_DEP_3)
	v_add_co_ci_u32_e64 v149, s16, 0, v146, s16
	v_cmp_ne_u32_e64 s16, 1, v147
	v_cndmask_b32_e64 v66, v66, v148, s15
	v_cndmask_b32_e32 v64, v64, v148, vcc_lo
	s_delay_alu instid0(VALU_DEP_4)
	v_cndmask_b32_e64 v67, v67, v149, s15
	v_cndmask_b32_e32 v65, v65, v149, vcc_lo
	s_mov_b32 s15, 0
	s_and_b32 vcc_lo, exec_lo, s16
	s_mov_b64 s[16:17], 1
	global_store_b128 v[145:146], v[8:11], off glc slc dlc
	s_cbranch_vccz .LBB6_666
; %bb.667:                              ;   in Loop: Header=BB6_665 Depth=3
	v_add_co_u32 v68, vcc_lo, v68, v102
	v_add_co_ci_u32_e32 v69, vcc_lo, v69, v103, vcc_lo
	v_add_co_u32 v70, vcc_lo, v70, v102
	v_sub_nc_u32_e32 v53, v53, v87
	v_add_co_ci_u32_e32 v71, vcc_lo, v71, v103, vcc_lo
	v_add_co_u32 v64, vcc_lo, v64, v97
	v_add_co_ci_u32_e32 v65, vcc_lo, v65, v100, vcc_lo
	s_delay_alu instid0(VALU_DEP_4) | instskip(SKIP_1) | instid1(VALU_DEP_1)
	v_cmp_gt_i32_e32 vcc_lo, 16, v53
	v_add_co_u32 v66, s15, v66, v97
	v_add_co_ci_u32_e64 v67, s15, v67, v100, s15
	v_sub_nc_u32_e32 v144, v144, v83
	s_or_b32 s20, vcc_lo, s20
	s_delay_alu instid0(SALU_CYCLE_1)
	s_and_not1_b32 exec_lo, exec_lo, s20
	s_cbranch_execnz .LBB6_665
; %bb.668:                              ;   in Loop: Header=BB6_569 Depth=2
	s_or_b32 exec_lo, exec_lo, s20
.LBB6_669:                              ;   in Loop: Header=BB6_569 Depth=2
	s_delay_alu instid0(SALU_CYCLE_1) | instskip(SKIP_3) | instid1(VALU_DEP_1)
	s_or_b32 exec_lo, exec_lo, s34
	v_and_b32_e32 v9, 8, v2
	s_mov_b32 s15, s31
	s_mov_b32 s16, exec_lo
                                        ; implicit-def: $vgpr68
                                        ; implicit-def: $vgpr70
                                        ; implicit-def: $vgpr8
	v_cndmask_b32_e64 v53, v135, v9, s14
	s_delay_alu instid0(VALU_DEP_1)
	v_cmpx_ne_u32_e32 0, v53
	s_cbranch_execz .LBB6_671
; %bb.670:                              ;   in Loop: Header=BB6_569 Depth=2
	v_cmp_lt_i32_e32 vcc_lo, 0, v144
	v_sub_nc_u32_e32 v9, v135, v9
	s_or_b32 s15, s31, exec_lo
	v_cndmask_b32_e32 v8, 0, v83, vcc_lo
	s_delay_alu instid0(VALU_DEP_2) | instskip(NEXT) | instid1(VALU_DEP_2)
	v_cndmask_b32_e64 v9, 0, v9, s14
	v_sub_nc_u32_e32 v8, v8, v144
	s_delay_alu instid0(VALU_DEP_2) | instskip(NEXT) | instid1(VALU_DEP_2)
	v_add3_u32 v68, v133, v132, v9
	v_lshl_add_u32 v70, v8, 5, v134
	s_delay_alu instid0(VALU_DEP_1) | instskip(NEXT) | instid1(VALU_DEP_1)
	v_ashrrev_i32_e32 v8, 31, v70
	v_lshrrev_b32_e32 v8, 27, v8
	s_delay_alu instid0(VALU_DEP_1) | instskip(NEXT) | instid1(VALU_DEP_1)
	v_add_nc_u32_e32 v8, v70, v8
	v_ashrrev_i32_e32 v8, 5, v8
.LBB6_671:                              ;   in Loop: Header=BB6_569 Depth=2
	s_or_b32 exec_lo, exec_lo, s16
	s_delay_alu instid0(SALU_CYCLE_1) | instskip(SKIP_1) | instid1(SALU_CYCLE_1)
	s_and_not1_b32 s14, s31, exec_lo
	s_and_b32 s15, s15, exec_lo
	s_or_b32 s31, s14, s15
.LBB6_672:                              ;   in Loop: Header=BB6_569 Depth=2
	s_or_b32 exec_lo, exec_lo, s6
	s_branch .LBB6_674
.LBB6_673:                              ;   in Loop: Header=BB6_569 Depth=2
	v_dual_mov_b32 v68, s14 :: v_dual_mov_b32 v53, v2
	v_mov_b32_e32 v70, v0
	v_mov_b32_e32 v8, v84
.LBB6_674:                              ;   in Loop: Header=BB6_569 Depth=2
	s_and_saveexec_b32 s6, s31
	s_cbranch_execz .LBB6_688
; %bb.675:                              ;   in Loop: Header=BB6_569 Depth=2
	v_ashrrev_i32_e32 v9, 31, v53
	s_mov_b32 s15, exec_lo
	s_delay_alu instid0(VALU_DEP_1) | instskip(NEXT) | instid1(VALU_DEP_1)
	v_lshrrev_b32_e32 v9, 22, v9
	v_add_nc_u32_e32 v9, v53, v9
	s_delay_alu instid0(VALU_DEP_1) | instskip(NEXT) | instid1(VALU_DEP_1)
	v_ashrrev_i32_e32 v71, 10, v9
	v_sub_nc_u32_e32 v69, v71, v8
	s_delay_alu instid0(VALU_DEP_1)
	v_cmpx_lt_i32_e32 0, v69
	s_cbranch_execz .LBB6_680
; %bb.676:                              ;   in Loop: Header=BB6_569 Depth=2
	s_cbranch_execnz .LBB6_1768
; %bb.677:                              ;   in Loop: Header=BB6_569 Depth=2
	v_ashrrev_i32_e32 v9, 31, v70
	ds_load_b128 v[64:67], v0
	v_lshlrev_b32_e32 v8, 10, v8
	s_mov_b32 s16, 0
	v_lshrrev_b32_e32 v9, 27, v9
	s_delay_alu instid0(VALU_DEP_1) | instskip(NEXT) | instid1(VALU_DEP_1)
	v_add_nc_u32_e32 v9, v70, v9
	v_and_b32_e32 v9, 0x1fffffe0, v9
	s_delay_alu instid0(VALU_DEP_1) | instskip(NEXT) | instid1(VALU_DEP_1)
	v_sub_nc_u32_e32 v9, v70, v9
	v_lshlrev_b32_e32 v9, 3, v9
	s_delay_alu instid0(VALU_DEP_1) | instskip(NEXT) | instid1(VALU_DEP_1)
	v_add3_u32 v10, v9, v68, v8
	v_ashrrev_i32_e32 v11, 31, v10
	s_waitcnt lgkmcnt(0)
	v_add_co_u32 v8, vcc_lo, v64, v10
	s_delay_alu instid0(VALU_DEP_2) | instskip(SKIP_2) | instid1(VALU_DEP_3)
	v_add_co_ci_u32_e32 v9, vcc_lo, v65, v11, vcc_lo
	v_add_co_u32 v10, vcc_lo, v66, v10
	v_add_co_ci_u32_e32 v11, vcc_lo, v67, v11, vcc_lo
	v_dual_mov_b32 v65, v9 :: v_dual_mov_b32 v64, v8
	s_delay_alu instid0(VALU_DEP_2)
	v_dual_mov_b32 v67, v11 :: v_dual_mov_b32 v66, v10
.LBB6_678:                              ;   Parent Loop BB6_51 Depth=1
                                        ;     Parent Loop BB6_569 Depth=2
                                        ; =>    This Inner Loop Header: Depth=3
	flat_load_b64 v[132:133], v[10:11] slc dlc
	flat_load_b64 v[134:135], v[8:9] slc dlc
	flat_load_b64 v[144:145], v[10:11] offset:256 slc dlc
	flat_load_b64 v[146:147], v[8:9] offset:256 slc dlc
	;; [unrolled: 1-line block ×6, first 2 shown]
	v_add_co_u32 v8, vcc_lo, v8, v113
	v_sub_nc_u32_e32 v69, v69, v83
	v_add_co_ci_u32_e32 v9, vcc_lo, v9, v114, vcc_lo
	v_add_co_u32 v10, vcc_lo, v10, v113
	v_add_co_ci_u32_e32 v11, vcc_lo, v11, v114, vcc_lo
	s_delay_alu instid0(VALU_DEP_4)
	v_cmp_gt_i32_e32 vcc_lo, 1, v69
	s_or_b32 s16, vcc_lo, s16
	s_waitcnt vmcnt(7) lgkmcnt(7)
	v_max_f64 v[132:133], v[132:133], v[132:133]
	s_waitcnt vmcnt(6) lgkmcnt(6)
	v_max_f64 v[134:135], v[134:135], v[134:135]
	;; [unrolled: 2-line block ×8, first 2 shown]
	v_min_f64 v[164:165], v[134:135], v[132:133]
	v_max_f64 v[132:133], v[134:135], v[132:133]
	v_min_f64 v[134:135], v[146:147], v[144:145]
	v_max_f64 v[144:145], v[146:147], v[144:145]
	;; [unrolled: 2-line block ×4, first 2 shown]
	v_cndmask_b32_e64 v133, v165, v133, s13
	v_cndmask_b32_e64 v132, v164, v132, s13
	;; [unrolled: 1-line block ×8, first 2 shown]
	s_clause 0x3
	flat_store_b64 v[64:65], v[132:133] glc slc dlc
	flat_store_b64 v[64:65], v[134:135] offset:256 glc slc dlc
	flat_store_b64 v[64:65], v[144:145] offset:512 glc slc dlc
	;; [unrolled: 1-line block ×3, first 2 shown]
	s_clause 0x3
	flat_store_b64 v[66:67], v[132:133] glc slc dlc
	flat_store_b64 v[66:67], v[134:135] offset:256 glc slc dlc
	flat_store_b64 v[66:67], v[144:145] offset:512 glc slc dlc
	;; [unrolled: 1-line block ×3, first 2 shown]
	v_add_co_u32 v64, s14, v64, v113
	s_delay_alu instid0(VALU_DEP_1) | instskip(SKIP_1) | instid1(VALU_DEP_1)
	v_add_co_ci_u32_e64 v65, s14, v65, v114, s14
	v_add_co_u32 v66, s14, v66, v113
	v_add_co_ci_u32_e64 v67, s14, v67, v114, s14
	s_and_not1_b32 exec_lo, exec_lo, s16
	s_cbranch_execnz .LBB6_678
; %bb.679:                              ;   in Loop: Header=BB6_569 Depth=2
	s_or_b32 exec_lo, exec_lo, s16
.LBB6_680:                              ;   in Loop: Header=BB6_569 Depth=2
	s_delay_alu instid0(SALU_CYCLE_1) | instskip(SKIP_2) | instid1(VALU_DEP_1)
	s_or_b32 exec_lo, exec_lo, s15
	v_lshlrev_b32_e32 v8, 10, v71
	s_mov_b32 s16, exec_lo
	v_cmpx_ne_u32_e64 v53, v8
	s_cbranch_execz .LBB6_687
; %bb.681:                              ;   in Loop: Header=BB6_569 Depth=2
	v_ashrrev_i32_e32 v9, 31, v70
	v_lshlrev_b32_e32 v10, 5, v69
	s_delay_alu instid0(VALU_DEP_2) | instskip(NEXT) | instid1(VALU_DEP_1)
	v_lshrrev_b32_e32 v9, 27, v9
	v_add_nc_u32_e32 v9, v70, v9
	s_delay_alu instid0(VALU_DEP_1) | instskip(NEXT) | instid1(VALU_DEP_1)
	v_and_b32_e32 v9, 0xffffffe0, v9
	v_sub_nc_u32_e32 v9, v70, v9
	s_delay_alu instid0(VALU_DEP_1) | instskip(NEXT) | instid1(VALU_DEP_1)
	v_sub_nc_u32_e32 v9, v9, v10
	v_ashrrev_i32_e32 v10, 31, v9
	s_delay_alu instid0(VALU_DEP_1) | instskip(NEXT) | instid1(VALU_DEP_1)
	v_lshrrev_b32_e32 v10, 27, v10
	v_add_nc_u32_e32 v10, v9, v10
	s_delay_alu instid0(VALU_DEP_1) | instskip(SKIP_1) | instid1(VALU_DEP_2)
	v_and_b32_e32 v11, 0x1fffffe0, v10
	v_lshlrev_b32_e32 v10, 3, v10
	v_sub_nc_u32_e32 v9, v9, v11
	s_delay_alu instid0(VALU_DEP_2) | instskip(NEXT) | instid1(VALU_DEP_2)
	v_and_b32_e32 v10, 0xffffff00, v10
	v_lshlrev_b32_e32 v9, 3, v9
	s_delay_alu instid0(VALU_DEP_1) | instskip(NEXT) | instid1(VALU_DEP_1)
	v_add3_u32 v8, v10, v9, v8
	v_sub_nc_u32_e32 v53, v53, v8
	s_delay_alu instid0(VALU_DEP_1)
	v_cmp_lt_i32_e32 vcc_lo, 7, v53
	s_and_b32 exec_lo, exec_lo, vcc_lo
	s_cbranch_execz .LBB6_687
; %bb.682:                              ;   in Loop: Header=BB6_569 Depth=2
	s_cbranch_execnz .LBB6_1834
; %bb.683:                              ;   in Loop: Header=BB6_569 Depth=2
	ds_load_b128 v[64:67], v0
	v_add_nc_u32_e32 v10, v8, v68
	s_mov_b32 s17, 0
	s_delay_alu instid0(VALU_DEP_1) | instskip(SKIP_2) | instid1(VALU_DEP_2)
	v_ashrrev_i32_e32 v11, 31, v10
	s_waitcnt lgkmcnt(0)
	v_add_co_u32 v8, vcc_lo, v64, v10
	v_add_co_ci_u32_e32 v9, vcc_lo, v65, v11, vcc_lo
	s_delay_alu instid0(VALU_DEP_1) | instskip(SKIP_2) | instid1(VALU_DEP_1)
	v_mov_b32_e32 v65, v9
	v_add_co_u32 v10, vcc_lo, v66, v10
	v_add_co_ci_u32_e32 v11, vcc_lo, v67, v11, vcc_lo
	v_dual_mov_b32 v64, v8 :: v_dual_mov_b32 v67, v11
	s_delay_alu instid0(VALU_DEP_3)
	v_mov_b32_e32 v66, v10
.LBB6_684:                              ;   Parent Loop BB6_51 Depth=1
                                        ;     Parent Loop BB6_569 Depth=2
                                        ; =>    This Loop Header: Depth=3
                                        ;         Child Loop BB6_685 Depth 4
	flat_load_b64 v[68:69], v[66:67] slc dlc
	flat_load_b64 v[70:71], v[64:65] slc dlc
	s_mov_b64 s[14:15], 0
	s_mov_b32 s20, -1
	s_waitcnt vmcnt(1) lgkmcnt(1)
	v_max_f64 v[68:69], v[68:69], v[68:69]
	s_waitcnt vmcnt(0) lgkmcnt(0)
	v_max_f64 v[70:71], v[70:71], v[70:71]
	s_delay_alu instid0(VALU_DEP_1) | instskip(SKIP_1) | instid1(VALU_DEP_1)
	v_min_f64 v[132:133], v[70:71], v[68:69]
	v_max_f64 v[68:69], v[70:71], v[68:69]
	v_cndmask_b32_e64 v69, v133, v69, s13
	s_delay_alu instid0(VALU_DEP_2)
	v_cndmask_b32_e64 v68, v132, v68, s13
.LBB6_685:                              ;   Parent Loop BB6_51 Depth=1
                                        ;     Parent Loop BB6_569 Depth=2
                                        ;       Parent Loop BB6_684 Depth=3
                                        ; =>      This Inner Loop Header: Depth=4
	s_cmp_eq_u32 s14, 0
	v_cndmask_b32_e64 v132, 0, 1, s20
	s_cselect_b32 vcc_lo, -1, 0
	s_cmp_eq_u32 s14, 1
	s_mov_b32 s20, 0
	s_cselect_b32 s14, -1, 0
	s_delay_alu instid0(SALU_CYCLE_1) | instskip(SKIP_1) | instid1(VALU_DEP_2)
	v_cndmask_b32_e64 v70, v8, v10, s14
	v_cndmask_b32_e64 v71, v9, v11, s14
	v_add_co_u32 v133, s15, 0x100, v70
	s_delay_alu instid0(VALU_DEP_1) | instskip(SKIP_1) | instid1(VALU_DEP_3)
	v_add_co_ci_u32_e64 v134, s15, 0, v71, s15
	v_cmp_ne_u32_e64 s15, 1, v132
	v_cndmask_b32_e64 v10, v10, v133, s14
	v_cndmask_b32_e32 v8, v8, v133, vcc_lo
	s_delay_alu instid0(VALU_DEP_4)
	v_cndmask_b32_e64 v11, v11, v134, s14
	v_cndmask_b32_e32 v9, v9, v134, vcc_lo
	s_and_b32 vcc_lo, exec_lo, s15
	s_mov_b64 s[14:15], 1
	flat_store_b64 v[70:71], v[68:69] glc slc dlc
	s_cbranch_vccz .LBB6_685
; %bb.686:                              ;   in Loop: Header=BB6_684 Depth=3
	v_add_co_u32 v64, vcc_lo, v64, v116
	v_add_co_ci_u32_e32 v65, vcc_lo, v65, v117, vcc_lo
	v_add_co_u32 v66, vcc_lo, v66, v116
	v_sub_nc_u32_e32 v53, v53, v101
	v_add_co_ci_u32_e32 v67, vcc_lo, v67, v117, vcc_lo
	v_add_co_u32 v8, vcc_lo, v8, v112
	v_add_co_ci_u32_e32 v9, vcc_lo, v9, v115, vcc_lo
	s_delay_alu instid0(VALU_DEP_4) | instskip(SKIP_1) | instid1(VALU_DEP_1)
	v_cmp_gt_i32_e32 vcc_lo, 8, v53
	v_add_co_u32 v10, s14, v10, v112
	v_add_co_ci_u32_e64 v11, s14, v11, v115, s14
	s_or_b32 s17, vcc_lo, s17
	s_delay_alu instid0(SALU_CYCLE_1)
	s_and_not1_b32 exec_lo, exec_lo, s17
	s_cbranch_execnz .LBB6_684
.LBB6_687:                              ;   in Loop: Header=BB6_569 Depth=2
	s_or_b32 exec_lo, exec_lo, s16
.LBB6_688:                              ;   in Loop: Header=BB6_569 Depth=2
	s_delay_alu instid0(SALU_CYCLE_1)
	s_or_b32 exec_lo, exec_lo, s6
	s_mov_b32 s6, 0
.LBB6_689:                              ;   in Loop: Header=BB6_569 Depth=2
	s_delay_alu instid0(SALU_CYCLE_1)
	s_and_b32 vcc_lo, exec_lo, s6
	s_cbranch_vccz .LBB6_727
; %bb.690:                              ;   in Loop: Header=BB6_569 Depth=2
	s_mov_b32 s6, -1
	s_and_saveexec_b32 s13, s12
	s_cbranch_execz .LBB6_692
; %bb.691:                              ;   in Loop: Header=BB6_569 Depth=2
	ds_load_b32 v8, v0 offset:720
	s_waitcnt lgkmcnt(0)
	v_and_b32_e32 v8, 15, v8
	s_delay_alu instid0(VALU_DEP_1)
	v_cmp_eq_u32_e32 vcc_lo, 0, v8
	s_or_not1_b32 s6, vcc_lo, exec_lo
.LBB6_692:                              ;   in Loop: Header=BB6_569 Depth=2
	s_or_b32 exec_lo, exec_lo, s13
	s_and_saveexec_b32 s13, s5
	s_cbranch_execz .LBB6_694
; %bb.693:                              ;   in Loop: Header=BB6_569 Depth=2
	ds_load_b32 v8, v0 offset:784
	s_waitcnt lgkmcnt(0)
	v_and_b32_e32 v8, 15, v8
	s_delay_alu instid0(VALU_DEP_1) | instskip(SKIP_3) | instid1(SALU_CYCLE_1)
	v_cmp_eq_u32_e32 vcc_lo, 0, v8
	s_and_b32 s14, s6, vcc_lo
	s_and_not1_b32 s6, s6, exec_lo
	s_and_b32 s14, s14, exec_lo
	s_or_b32 s6, s6, s14
.LBB6_694:                              ;   in Loop: Header=BB6_569 Depth=2
	s_or_b32 exec_lo, exec_lo, s13
	s_xor_b32 s6, s6, -1
	s_delay_alu instid0(SALU_CYCLE_1) | instskip(SKIP_1) | instid1(VALU_DEP_1)
	v_cndmask_b32_e64 v8, 0, 1, s6
	;;#ASMSTART
	;;#ASMEND
	v_cmp_ne_u32_e32 vcc_lo, 0, v8
	s_mov_b32 s6, -1
	s_cbranch_vccz .LBB6_696
; %bb.695:                              ;   in Loop: Header=BB6_569 Depth=2
	s_bitcmp1_b32 s30, 0
	s_mov_b32 s6, 0
	s_mov_b32 s16, -1
	s_mov_b32 s14, 0
	s_cselect_b32 s13, -1, 0
	s_branch .LBB6_697
.LBB6_696:                              ;   in Loop: Header=BB6_569 Depth=2
	s_mov_b32 s16, 0
                                        ; implicit-def: $sgpr14
                                        ; implicit-def: $sgpr13
.LBB6_697:                              ;   in Loop: Header=BB6_569 Depth=2
	s_and_not1_b32 vcc_lo, exec_lo, s6
	s_cbranch_vccnz .LBB6_713
; %bb.698:                              ;   in Loop: Header=BB6_569 Depth=2
	v_ashrrev_i32_e32 v8, 31, v2
	s_bitcmp1_b32 s30, 0
	s_mov_b32 s6, exec_lo
	s_cselect_b32 s13, -1, 0
	s_delay_alu instid0(VALU_DEP_1) | instskip(NEXT) | instid1(VALU_DEP_1)
	v_lshrrev_b32_e32 v8, 21, v8
	v_add_nc_u32_e32 v8, v2, v8
	s_delay_alu instid0(VALU_DEP_1) | instskip(NEXT) | instid1(VALU_DEP_1)
	v_ashrrev_i32_e32 v53, 11, v8
	v_sub_nc_u32_e32 v66, v53, v84
	s_delay_alu instid0(VALU_DEP_1)
	v_cmpx_lt_i32_e32 0, v66
	s_cbranch_execz .LBB6_703
; %bb.699:                              ;   in Loop: Header=BB6_569 Depth=2
	s_cbranch_execnz .LBB6_1776
; %bb.700:                              ;   in Loop: Header=BB6_569 Depth=2
	ds_load_b128 v[8:11], v0
	ds_load_b64 v[64:65], v0
	s_mov_b32 s15, 0
	s_waitcnt lgkmcnt(1)
	v_add_co_u32 v8, vcc_lo, v8, v118
	v_add_co_ci_u32_e32 v9, vcc_lo, v9, v119, vcc_lo
	v_add_co_u32 v10, vcc_lo, v10, v118
	v_add_co_ci_u32_e32 v11, vcc_lo, v11, v119, vcc_lo
	s_waitcnt lgkmcnt(0)
	v_add_co_u32 v64, vcc_lo, v64, v118
	v_add_co_ci_u32_e32 v65, vcc_lo, v65, v119, vcc_lo
.LBB6_701:                              ;   Parent Loop BB6_51 Depth=1
                                        ;     Parent Loop BB6_569 Depth=2
                                        ; =>    This Inner Loop Header: Depth=3
	global_load_b128 v[67:70], v[10:11], off slc dlc
	global_load_b128 v[132:135], v[8:9], off slc dlc
	global_load_b128 v[144:147], v[10:11], off offset:512 slc dlc
	global_load_b128 v[148:151], v[8:9], off offset:512 slc dlc
	;; [unrolled: 1-line block ×6, first 2 shown]
	v_add_co_u32 v8, vcc_lo, v8, v128
	v_sub_nc_u32_e32 v66, v66, v83
	v_add_co_ci_u32_e32 v9, vcc_lo, v9, v129, vcc_lo
	v_add_co_u32 v10, vcc_lo, v10, v128
	v_add_co_ci_u32_e32 v11, vcc_lo, v11, v129, vcc_lo
	s_delay_alu instid0(VALU_DEP_4)
	v_cmp_gt_i32_e32 vcc_lo, 1, v66
	s_or_b32 s15, vcc_lo, s15
	s_waitcnt vmcnt(7)
	v_max_f64 v[67:68], v[67:68], v[67:68]
	s_waitcnt vmcnt(6)
	v_max_f64 v[132:133], v[132:133], v[132:133]
	v_max_f64 v[69:70], v[69:70], v[69:70]
	v_max_f64 v[134:135], v[134:135], v[134:135]
	s_waitcnt vmcnt(5)
	v_max_f64 v[144:145], v[144:145], v[144:145]
	s_waitcnt vmcnt(4)
	v_max_f64 v[148:149], v[148:149], v[148:149]
	v_max_f64 v[146:147], v[146:147], v[146:147]
	v_max_f64 v[150:151], v[150:151], v[150:151]
	;; [unrolled: 6-line block ×4, first 2 shown]
	v_min_f64 v[40:41], v[132:133], v[67:68]
	v_max_f64 v[67:68], v[132:133], v[67:68]
	v_min_f64 v[132:133], v[134:135], v[69:70]
	v_max_f64 v[69:70], v[134:135], v[69:70]
	v_min_f64 v[134:135], v[148:149], v[144:145]
	v_max_f64 v[144:145], v[148:149], v[144:145]
	v_min_f64 v[148:149], v[150:151], v[146:147]
	v_max_f64 v[146:147], v[150:151], v[146:147]
	v_min_f64 v[150:151], v[164:165], v[160:161]
	v_max_f64 v[160:161], v[164:165], v[160:161]
	v_min_f64 v[164:165], v[166:167], v[162:163]
	v_max_f64 v[162:163], v[166:167], v[162:163]
	v_min_f64 v[166:167], v[180:181], v[176:177]
	v_max_f64 v[176:177], v[180:181], v[176:177]
	v_min_f64 v[180:181], v[182:183], v[178:179]
	v_max_f64 v[178:179], v[182:183], v[178:179]
	v_cndmask_b32_e64 v68, v41, v68, s13
	v_cndmask_b32_e64 v67, v40, v67, s13
	;; [unrolled: 1-line block ×16, first 2 shown]
	s_clause 0x3
	global_store_b128 v[64:65], v[67:70], off glc slc dlc
	global_store_b128 v[64:65], v[132:135], off offset:512 glc slc dlc
	global_store_b128 v[64:65], v[144:147], off offset:1024 glc slc dlc
	global_store_b128 v[64:65], v[148:151], off offset:1536 glc slc dlc
	v_add_co_u32 v64, s14, v64, v128
	s_delay_alu instid0(VALU_DEP_1)
	v_add_co_ci_u32_e64 v65, s14, v65, v129, s14
	s_and_not1_b32 exec_lo, exec_lo, s15
	s_cbranch_execnz .LBB6_701
; %bb.702:                              ;   in Loop: Header=BB6_569 Depth=2
	s_or_b32 exec_lo, exec_lo, s15
.LBB6_703:                              ;   in Loop: Header=BB6_569 Depth=2
	s_delay_alu instid0(SALU_CYCLE_1) | instskip(SKIP_2) | instid1(VALU_DEP_1)
	s_or_b32 exec_lo, exec_lo, s6
	v_lshlrev_b32_e32 v68, 11, v53
	s_mov_b32 s6, exec_lo
                                        ; implicit-def: $vgpr53
                                        ; implicit-def: $vgpr67
                                        ; implicit-def: $vgpr8
	v_cmpx_ne_u32_e64 v2, v68
	s_cbranch_execz .LBB6_712
; %bb.704:                              ;   in Loop: Header=BB6_569 Depth=2
	v_lshlrev_b32_e32 v8, 5, v66
	v_sub_nc_u32_e32 v10, v2, v68
	s_mov_b32 s17, exec_lo
	s_delay_alu instid0(VALU_DEP_2) | instskip(NEXT) | instid1(VALU_DEP_2)
	v_sub_nc_u32_e32 v8, v85, v8
	v_ashrrev_i32_e32 v11, 31, v10
	s_delay_alu instid0(VALU_DEP_2) | instskip(NEXT) | instid1(VALU_DEP_2)
	v_ashrrev_i32_e32 v9, 31, v8
	v_lshrrev_b32_e32 v11, 23, v11
	s_delay_alu instid0(VALU_DEP_2) | instskip(NEXT) | instid1(VALU_DEP_2)
	v_lshrrev_b32_e32 v9, 27, v9
	v_add_nc_u32_e32 v11, v10, v11
	s_delay_alu instid0(VALU_DEP_2) | instskip(NEXT) | instid1(VALU_DEP_2)
	v_add_nc_u32_e32 v9, v8, v9
	v_and_b32_e32 v66, 0xfffffe00, v11
	v_ashrrev_i32_e32 v11, 9, v11
	s_delay_alu instid0(VALU_DEP_3) | instskip(NEXT) | instid1(VALU_DEP_3)
	v_and_b32_e32 v53, 0xffffffe0, v9
	v_sub_nc_u32_e32 v70, v10, v66
	v_ashrrev_i32_e32 v9, 5, v9
	s_delay_alu instid0(VALU_DEP_3) | instskip(NEXT) | instid1(VALU_DEP_3)
	v_sub_nc_u32_e32 v69, v8, v53
	v_cmp_lt_i32_e32 vcc_lo, 15, v70
	s_delay_alu instid0(VALU_DEP_2) | instskip(SKIP_1) | instid1(VALU_DEP_2)
	v_lshlrev_b32_e32 v8, 4, v69
	v_add_co_ci_u32_e64 v11, s14, 0, v11, vcc_lo
	v_lshl_add_u32 v8, v9, 9, v8
	s_delay_alu instid0(VALU_DEP_2) | instskip(NEXT) | instid1(VALU_DEP_2)
	v_sub_nc_u32_e32 v71, v11, v9
	v_sub_nc_u32_e32 v53, v10, v8
	s_delay_alu instid0(VALU_DEP_1)
	v_cmpx_lt_i32_e32 15, v53
	s_cbranch_execz .LBB6_709
; %bb.705:                              ;   in Loop: Header=BB6_569 Depth=2
	s_cbranch_execnz .LBB6_1848
; %bb.706:                              ;   in Loop: Header=BB6_569 Depth=2
	ds_load_b128 v[132:135], v0
	ds_load_b64 v[64:65], v0
	v_add_nc_u32_e32 v67, v8, v68
	s_mov_b32 s20, 0
	s_delay_alu instid0(VALU_DEP_1) | instskip(SKIP_2) | instid1(VALU_DEP_1)
	v_ashrrev_i32_e32 v144, 31, v67
	s_waitcnt lgkmcnt(1)
	v_add_co_u32 v8, s14, v132, v67
	v_add_co_ci_u32_e64 v9, s14, v133, v144, s14
	v_add_co_u32 v10, s14, v134, v67
	s_delay_alu instid0(VALU_DEP_1) | instskip(SKIP_2) | instid1(VALU_DEP_1)
	v_add_co_ci_u32_e64 v11, s14, v135, v144, s14
	s_waitcnt lgkmcnt(0)
	v_add_co_u32 v64, s14, v64, v67
	v_add_co_ci_u32_e64 v65, s14, v65, v144, s14
.LBB6_707:                              ;   Parent Loop BB6_51 Depth=1
                                        ;     Parent Loop BB6_569 Depth=2
                                        ; =>    This Inner Loop Header: Depth=3
	global_load_b128 v[132:135], v[10:11], off slc dlc
	global_load_b128 v[144:147], v[8:9], off slc dlc
	v_add_co_u32 v8, s14, v8, v102
	v_sub_nc_u32_e32 v53, v53, v87
	v_add_co_ci_u32_e64 v9, s14, v9, v103, s14
	v_add_co_u32 v10, s14, v10, v102
	s_delay_alu instid0(VALU_DEP_1) | instskip(NEXT) | instid1(VALU_DEP_4)
	v_add_co_ci_u32_e64 v11, s14, v11, v103, s14
	v_cmp_gt_i32_e64 s14, 16, v53
	v_sub_nc_u32_e32 v71, v71, v83
	s_delay_alu instid0(VALU_DEP_2)
	s_or_b32 s20, s14, s20
	s_waitcnt vmcnt(1)
	v_max_f64 v[132:133], v[132:133], v[132:133]
	s_waitcnt vmcnt(0)
	v_max_f64 v[144:145], v[144:145], v[144:145]
	v_max_f64 v[134:135], v[134:135], v[134:135]
	;; [unrolled: 1-line block ×3, first 2 shown]
	s_delay_alu instid0(VALU_DEP_3) | instskip(SKIP_1) | instid1(VALU_DEP_3)
	v_min_f64 v[148:149], v[144:145], v[132:133]
	v_max_f64 v[132:133], v[144:145], v[132:133]
	v_min_f64 v[144:145], v[146:147], v[134:135]
	v_max_f64 v[134:135], v[146:147], v[134:135]
	s_delay_alu instid0(VALU_DEP_3) | instskip(NEXT) | instid1(VALU_DEP_4)
	v_cndmask_b32_e64 v133, v149, v133, s13
	v_cndmask_b32_e64 v132, v148, v132, s13
	s_delay_alu instid0(VALU_DEP_3) | instskip(NEXT) | instid1(VALU_DEP_4)
	v_cndmask_b32_e64 v135, v145, v135, s13
	v_cndmask_b32_e64 v134, v144, v134, s13
	global_store_b128 v[64:65], v[132:135], off glc slc dlc
	v_add_co_u32 v64, s15, v64, v102
	s_delay_alu instid0(VALU_DEP_1)
	v_add_co_ci_u32_e64 v65, s15, v65, v103, s15
	s_and_not1_b32 exec_lo, exec_lo, s20
	s_cbranch_execnz .LBB6_707
; %bb.708:                              ;   in Loop: Header=BB6_569 Depth=2
	s_or_b32 exec_lo, exec_lo, s20
.LBB6_709:                              ;   in Loop: Header=BB6_569 Depth=2
	s_delay_alu instid0(SALU_CYCLE_1) | instskip(SKIP_3) | instid1(VALU_DEP_1)
	s_or_b32 exec_lo, exec_lo, s17
	v_and_b32_e32 v9, 8, v2
	s_mov_b32 s15, s16
	s_mov_b32 s17, exec_lo
                                        ; implicit-def: $vgpr53
                                        ; implicit-def: $vgpr67
                                        ; implicit-def: $vgpr8
	v_cndmask_b32_e32 v2, v70, v9, vcc_lo
	s_delay_alu instid0(VALU_DEP_1)
	v_cmpx_ne_u32_e32 0, v2
; %bb.710:                              ;   in Loop: Header=BB6_569 Depth=2
	v_cmp_lt_i32_e64 s14, 0, v71
	v_sub_nc_u32_e32 v9, v70, v9
	s_or_b32 s15, s16, exec_lo
	s_delay_alu instid0(VALU_DEP_2) | instskip(NEXT) | instid1(VALU_DEP_1)
	v_cndmask_b32_e64 v8, 0, v83, s14
	v_sub_nc_u32_e32 v8, v8, v71
	s_delay_alu instid0(VALU_DEP_1) | instskip(NEXT) | instid1(VALU_DEP_1)
	v_lshl_add_u32 v67, v8, 5, v69
	v_ashrrev_i32_e32 v8, 31, v67
	s_delay_alu instid0(VALU_DEP_1) | instskip(NEXT) | instid1(VALU_DEP_1)
	v_lshrrev_b32_e32 v8, 27, v8
	v_dual_cndmask_b32 v9, 0, v9 :: v_dual_add_nc_u32 v8, v67, v8
	s_delay_alu instid0(VALU_DEP_1) | instskip(NEXT) | instid1(VALU_DEP_2)
	v_add3_u32 v53, v66, v68, v9
	v_ashrrev_i32_e32 v8, 5, v8
; %bb.711:                              ;   in Loop: Header=BB6_569 Depth=2
	s_or_b32 exec_lo, exec_lo, s17
	s_delay_alu instid0(SALU_CYCLE_1) | instskip(SKIP_1) | instid1(SALU_CYCLE_1)
	s_and_not1_b32 s14, s16, exec_lo
	s_and_b32 s15, s15, exec_lo
	s_or_b32 s16, s14, s15
.LBB6_712:                              ;   in Loop: Header=BB6_569 Depth=2
	s_or_b32 exec_lo, exec_lo, s6
	s_branch .LBB6_714
.LBB6_713:                              ;   in Loop: Header=BB6_569 Depth=2
	v_dual_mov_b32 v53, s14 :: v_dual_mov_b32 v8, v84
	v_mov_b32_e32 v67, v0
.LBB6_714:                              ;   in Loop: Header=BB6_569 Depth=2
	s_and_saveexec_b32 s6, s16
	s_cbranch_execz .LBB6_726
; %bb.715:                              ;   in Loop: Header=BB6_569 Depth=2
	v_ashrrev_i32_e32 v9, 31, v2
	s_mov_b32 s15, exec_lo
	s_delay_alu instid0(VALU_DEP_1) | instskip(NEXT) | instid1(VALU_DEP_1)
	v_lshrrev_b32_e32 v9, 22, v9
	v_add_nc_u32_e32 v9, v2, v9
	s_delay_alu instid0(VALU_DEP_1) | instskip(NEXT) | instid1(VALU_DEP_1)
	v_ashrrev_i32_e32 v68, 10, v9
	v_sub_nc_u32_e32 v66, v68, v8
	s_delay_alu instid0(VALU_DEP_1)
	v_cmpx_lt_i32_e32 0, v66
	s_cbranch_execz .LBB6_720
; %bb.716:                              ;   in Loop: Header=BB6_569 Depth=2
	s_cbranch_execnz .LBB6_1790
; %bb.717:                              ;   in Loop: Header=BB6_569 Depth=2
	v_ashrrev_i32_e32 v9, 31, v67
	ds_load_b128 v[132:135], v0
	ds_load_b64 v[64:65], v0
	v_lshlrev_b32_e32 v8, 10, v8
	s_mov_b32 s16, 0
	v_lshrrev_b32_e32 v9, 27, v9
	s_delay_alu instid0(VALU_DEP_1) | instskip(NEXT) | instid1(VALU_DEP_1)
	v_add_nc_u32_e32 v9, v67, v9
	v_and_b32_e32 v9, 0x1fffffe0, v9
	s_delay_alu instid0(VALU_DEP_1) | instskip(NEXT) | instid1(VALU_DEP_1)
	v_sub_nc_u32_e32 v9, v67, v9
	v_lshlrev_b32_e32 v9, 3, v9
	s_delay_alu instid0(VALU_DEP_1) | instskip(NEXT) | instid1(VALU_DEP_1)
	v_add3_u32 v69, v9, v53, v8
	v_ashrrev_i32_e32 v70, 31, v69
	s_waitcnt lgkmcnt(1)
	v_add_co_u32 v8, vcc_lo, v132, v69
	s_delay_alu instid0(VALU_DEP_2)
	v_add_co_ci_u32_e32 v9, vcc_lo, v133, v70, vcc_lo
	v_add_co_u32 v10, vcc_lo, v134, v69
	v_add_co_ci_u32_e32 v11, vcc_lo, v135, v70, vcc_lo
	s_waitcnt lgkmcnt(0)
	v_add_co_u32 v64, vcc_lo, v64, v69
	v_add_co_ci_u32_e32 v65, vcc_lo, v65, v70, vcc_lo
.LBB6_718:                              ;   Parent Loop BB6_51 Depth=1
                                        ;     Parent Loop BB6_569 Depth=2
                                        ; =>    This Inner Loop Header: Depth=3
	flat_load_b64 v[69:70], v[10:11] slc dlc
	flat_load_b64 v[132:133], v[8:9] slc dlc
	flat_load_b64 v[134:135], v[10:11] offset:256 slc dlc
	flat_load_b64 v[144:145], v[8:9] offset:256 slc dlc
	;; [unrolled: 1-line block ×6, first 2 shown]
	v_add_co_u32 v8, vcc_lo, v8, v113
	v_sub_nc_u32_e32 v66, v66, v83
	v_add_co_ci_u32_e32 v9, vcc_lo, v9, v114, vcc_lo
	v_add_co_u32 v10, vcc_lo, v10, v113
	v_add_co_ci_u32_e32 v11, vcc_lo, v11, v114, vcc_lo
	s_delay_alu instid0(VALU_DEP_4)
	v_cmp_gt_i32_e32 vcc_lo, 1, v66
	s_or_b32 s16, vcc_lo, s16
	s_waitcnt vmcnt(7) lgkmcnt(7)
	v_max_f64 v[69:70], v[69:70], v[69:70]
	s_waitcnt vmcnt(6) lgkmcnt(6)
	v_max_f64 v[132:133], v[132:133], v[132:133]
	;; [unrolled: 2-line block ×8, first 2 shown]
	v_min_f64 v[162:163], v[132:133], v[69:70]
	v_max_f64 v[69:70], v[132:133], v[69:70]
	v_min_f64 v[132:133], v[144:145], v[134:135]
	v_max_f64 v[134:135], v[144:145], v[134:135]
	;; [unrolled: 2-line block ×4, first 2 shown]
	v_cndmask_b32_e64 v70, v163, v70, s13
	v_cndmask_b32_e64 v69, v162, v69, s13
	;; [unrolled: 1-line block ×8, first 2 shown]
	s_clause 0x3
	flat_store_b64 v[64:65], v[69:70] glc slc dlc
	flat_store_b64 v[64:65], v[132:133] offset:256 glc slc dlc
	flat_store_b64 v[64:65], v[134:135] offset:512 glc slc dlc
	;; [unrolled: 1-line block ×3, first 2 shown]
	v_add_co_u32 v64, s14, v64, v113
	s_delay_alu instid0(VALU_DEP_1)
	v_add_co_ci_u32_e64 v65, s14, v65, v114, s14
	s_and_not1_b32 exec_lo, exec_lo, s16
	s_cbranch_execnz .LBB6_718
; %bb.719:                              ;   in Loop: Header=BB6_569 Depth=2
	s_or_b32 exec_lo, exec_lo, s16
.LBB6_720:                              ;   in Loop: Header=BB6_569 Depth=2
	s_delay_alu instid0(SALU_CYCLE_1) | instskip(SKIP_2) | instid1(VALU_DEP_1)
	s_or_b32 exec_lo, exec_lo, s15
	v_lshlrev_b32_e32 v8, 10, v68
	s_mov_b32 s15, exec_lo
	v_cmpx_ne_u32_e64 v2, v8
	s_cbranch_execz .LBB6_725
; %bb.721:                              ;   in Loop: Header=BB6_569 Depth=2
	v_ashrrev_i32_e32 v9, 31, v67
	v_lshlrev_b32_e32 v10, 5, v66
	s_delay_alu instid0(VALU_DEP_2) | instskip(NEXT) | instid1(VALU_DEP_1)
	v_lshrrev_b32_e32 v9, 27, v9
	v_add_nc_u32_e32 v9, v67, v9
	s_delay_alu instid0(VALU_DEP_1) | instskip(NEXT) | instid1(VALU_DEP_1)
	v_and_b32_e32 v9, 0xffffffe0, v9
	v_sub_nc_u32_e32 v9, v67, v9
	s_delay_alu instid0(VALU_DEP_1) | instskip(NEXT) | instid1(VALU_DEP_1)
	v_sub_nc_u32_e32 v9, v9, v10
	v_ashrrev_i32_e32 v10, 31, v9
	s_delay_alu instid0(VALU_DEP_1) | instskip(NEXT) | instid1(VALU_DEP_1)
	v_lshrrev_b32_e32 v10, 27, v10
	v_add_nc_u32_e32 v10, v9, v10
	s_delay_alu instid0(VALU_DEP_1) | instskip(SKIP_1) | instid1(VALU_DEP_2)
	v_and_b32_e32 v11, 0x1fffffe0, v10
	v_lshlrev_b32_e32 v10, 3, v10
	v_sub_nc_u32_e32 v9, v9, v11
	s_delay_alu instid0(VALU_DEP_2) | instskip(NEXT) | instid1(VALU_DEP_2)
	v_and_b32_e32 v10, 0xffffff00, v10
	v_lshlrev_b32_e32 v9, 3, v9
	s_delay_alu instid0(VALU_DEP_1) | instskip(NEXT) | instid1(VALU_DEP_1)
	v_add3_u32 v8, v10, v9, v8
	v_sub_nc_u32_e32 v2, v2, v8
	s_delay_alu instid0(VALU_DEP_1)
	v_cmp_lt_i32_e32 vcc_lo, 7, v2
	s_and_b32 exec_lo, exec_lo, vcc_lo
	s_cbranch_execz .LBB6_725
; %bb.722:                              ;   in Loop: Header=BB6_569 Depth=2
	s_cbranch_execnz .LBB6_1856
; %bb.723:                              ;   in Loop: Header=BB6_569 Depth=2
	ds_load_b128 v[64:67], v0
	ds_load_b64 v[68:69], v0
	v_add_nc_u32_e32 v53, v8, v53
	s_mov_b32 s16, 0
	s_delay_alu instid0(VALU_DEP_1) | instskip(SKIP_2) | instid1(VALU_DEP_2)
	v_ashrrev_i32_e32 v70, 31, v53
	s_waitcnt lgkmcnt(1)
	v_add_co_u32 v8, vcc_lo, v64, v53
	v_add_co_ci_u32_e32 v9, vcc_lo, v65, v70, vcc_lo
	v_add_co_u32 v10, vcc_lo, v66, v53
	v_add_co_ci_u32_e32 v11, vcc_lo, v67, v70, vcc_lo
	s_waitcnt lgkmcnt(0)
	v_add_co_u32 v64, vcc_lo, v68, v53
	v_add_co_ci_u32_e32 v65, vcc_lo, v69, v70, vcc_lo
	s_set_inst_prefetch_distance 0x1
.LBB6_724:                              ;   Parent Loop BB6_51 Depth=1
                                        ;     Parent Loop BB6_569 Depth=2
                                        ; =>    This Inner Loop Header: Depth=3
	flat_load_b64 v[66:67], v[10:11] slc dlc
	flat_load_b64 v[68:69], v[8:9] slc dlc
	v_add_co_u32 v8, vcc_lo, v8, v116
	v_sub_nc_u32_e32 v2, v2, v101
	v_add_co_ci_u32_e32 v9, vcc_lo, v9, v117, vcc_lo
	v_add_co_u32 v10, vcc_lo, v10, v116
	v_add_co_ci_u32_e32 v11, vcc_lo, v11, v117, vcc_lo
	s_delay_alu instid0(VALU_DEP_4)
	v_cmp_gt_i32_e32 vcc_lo, 8, v2
	s_or_b32 s16, vcc_lo, s16
	s_waitcnt vmcnt(1) lgkmcnt(1)
	v_max_f64 v[66:67], v[66:67], v[66:67]
	s_waitcnt vmcnt(0) lgkmcnt(0)
	v_max_f64 v[68:69], v[68:69], v[68:69]
	s_delay_alu instid0(VALU_DEP_1) | instskip(SKIP_1) | instid1(VALU_DEP_1)
	v_min_f64 v[70:71], v[68:69], v[66:67]
	v_max_f64 v[66:67], v[68:69], v[66:67]
	v_cndmask_b32_e64 v67, v71, v67, s13
	s_delay_alu instid0(VALU_DEP_2) | instskip(SKIP_2) | instid1(VALU_DEP_1)
	v_cndmask_b32_e64 v66, v70, v66, s13
	flat_store_b64 v[64:65], v[66:67] glc slc dlc
	v_add_co_u32 v64, s14, v64, v116
	v_add_co_ci_u32_e64 v65, s14, v65, v117, s14
	s_and_not1_b32 exec_lo, exec_lo, s16
	s_cbranch_execnz .LBB6_724
.LBB6_725:                              ;   in Loop: Header=BB6_569 Depth=2
	s_set_inst_prefetch_distance 0x2
	s_or_b32 exec_lo, exec_lo, s15
.LBB6_726:                              ;   in Loop: Header=BB6_569 Depth=2
	s_delay_alu instid0(SALU_CYCLE_1)
	s_or_b32 exec_lo, exec_lo, s6
.LBB6_727:                              ;   in Loop: Header=BB6_569 Depth=2
	s_and_saveexec_b32 s6, s3
	s_cbranch_execz .LBB6_749
; %bb.728:                              ;   in Loop: Header=BB6_569 Depth=2
	s_and_saveexec_b32 s13, s4
	s_delay_alu instid0(SALU_CYCLE_1)
	s_xor_b32 s13, exec_lo, s13
	s_cbranch_execz .LBB6_746
; %bb.729:                              ;   in Loop: Header=BB6_569 Depth=2
	s_and_saveexec_b32 s14, s1
	s_cbranch_execz .LBB6_745
; %bb.730:                              ;   in Loop: Header=BB6_569 Depth=2
	s_mov_b32 s16, exec_lo
	s_mov_b32 s15, exec_lo
	v_mbcnt_lo_u32_b32 v2, s16, 0
	s_waitcnt lgkmcnt(0)
	s_waitcnt_vscnt null, 0x0
	buffer_gl1_inv
	buffer_gl0_inv
	v_cmpx_eq_u32_e32 0, v2
	s_cbranch_execz .LBB6_732
; %bb.731:                              ;   in Loop: Header=BB6_569 Depth=2
	s_bcnt1_i32_b32 s16, s16
	s_delay_alu instid0(SALU_CYCLE_1)
	v_mov_b32_e32 v2, s16
	ds_add_u64 v0, v[2:3]
	s_cbranch_execnz .LBB6_1754
.LBB6_732:                              ;   in Loop: Header=BB6_569 Depth=2
	s_or_b32 exec_lo, exec_lo, s15
	s_cbranch_execnz .LBB6_1728
; %bb.733:                              ;   in Loop: Header=BB6_569 Depth=2
	ds_load_b64 v[8:9], v0
	v_add_co_u32 v12, vcc_lo, v12, v83
	v_add_co_ci_u32_e32 v13, vcc_lo, 0, v13, vcc_lo
	s_mov_b32 s15, exec_lo
	s_waitcnt lgkmcnt(0)
	s_delay_alu instid0(VALU_DEP_1)
	v_cmpx_lt_u64_e64 v[8:9], v[12:13]
	s_cbranch_execz .LBB6_744
; %bb.734:                              ;   in Loop: Header=BB6_569 Depth=2
	s_mov_b32 s16, 0
	s_mov_b32 s28, 0
                                        ; implicit-def: $sgpr17
                                        ; implicit-def: $sgpr20
	s_branch .LBB6_736
.LBB6_735:                              ;   in Loop: Header=BB6_736 Depth=3
	s_or_b32 exec_lo, exec_lo, s31
	s_delay_alu instid0(SALU_CYCLE_1) | instskip(NEXT) | instid1(SALU_CYCLE_1)
	s_and_b32 vcc_lo, exec_lo, vcc_lo
	s_or_b32 s16, vcc_lo, s16
	s_and_not1_b32 s17, s17, exec_lo
	s_and_b32 vcc_lo, s20, exec_lo
	s_delay_alu instid0(SALU_CYCLE_1)
	s_or_b32 s17, s17, vcc_lo
	s_and_not1_b32 exec_lo, exec_lo, s16
	s_cbranch_execz .LBB6_742
.LBB6_736:                              ;   Parent Loop BB6_51 Depth=1
                                        ;     Parent Loop BB6_569 Depth=2
                                        ; =>    This Inner Loop Header: Depth=3
	s_add_i32 s28, s28, 1
                                        ; implicit-def: $sgpr31
	s_delay_alu instid0(SALU_CYCLE_1) | instskip(SKIP_1) | instid1(SALU_CYCLE_1)
	s_cmpk_lg_i32 s28, 0x2710
	s_cselect_b32 s30, -1, 0
	s_and_b32 vcc_lo, exec_lo, s30
	s_cbranch_vccz .LBB6_740
.LBB6_737:                              ;   in Loop: Header=BB6_736 Depth=3
	s_and_not1_b32 s20, s20, exec_lo
	s_and_b32 s31, s31, exec_lo
	s_mov_b32 vcc_lo, -1
	s_or_b32 s20, s20, s31
	s_and_saveexec_b32 s31, s30
	s_cbranch_execz .LBB6_735
; %bb.738:                              ;   in Loop: Header=BB6_736 Depth=3
	s_sleep 1
	s_cbranch_execnz .LBB6_1810
; %bb.739:                              ;   in Loop: Header=BB6_736 Depth=3
	ds_load_b64 v[8:9], v0
	s_and_not1_b32 s20, s20, exec_lo
	s_waitcnt lgkmcnt(0)
	v_cmp_ge_u64_e32 vcc_lo, v[8:9], v[12:13]
	s_or_not1_b32 vcc_lo, vcc_lo, exec_lo
	s_branch .LBB6_735
.LBB6_740:                              ;   in Loop: Header=BB6_736 Depth=3
	s_cbranch_execnz .LBB6_1830
; %bb.741:                              ;   in Loop: Header=BB6_736 Depth=3
	ds_load_b64 v[8:9], v0
	s_and_not1_b32 s30, s30, exec_lo
	s_mov_b32 s28, 0
	s_mov_b32 s31, -1
	s_waitcnt lgkmcnt(0)
	flat_load_b32 v2, v[8:9] glc
	s_waitcnt vmcnt(0) lgkmcnt(0)
	buffer_gl1_inv
	buffer_gl0_inv
	v_cmp_eq_u32_e32 vcc_lo, 0, v2
	s_and_b32 vcc_lo, vcc_lo, exec_lo
	s_delay_alu instid0(SALU_CYCLE_1)
	s_or_b32 s30, s30, vcc_lo
	s_branch .LBB6_737
.LBB6_742:                              ;   in Loop: Header=BB6_569 Depth=2
	s_or_b32 exec_lo, exec_lo, s16
	s_and_saveexec_b32 s16, s17
	s_delay_alu instid0(SALU_CYCLE_1)
	s_xor_b32 s16, exec_lo, s16
	s_cbranch_execz .LBB6_744
; %bb.743:                              ;   in Loop: Header=BB6_569 Depth=2
	ds_store_b32 v0, v130
	s_cbranch_execnz .LBB6_1934
.LBB6_744:                              ;   in Loop: Header=BB6_569 Depth=2
	s_or_b32 exec_lo, exec_lo, s15
	;;#ASMSTART
	s_wakeup
	;;#ASMEND
.LBB6_745:                              ;   in Loop: Header=BB6_569 Depth=2
	s_or_b32 exec_lo, exec_lo, s14
.LBB6_746:                              ;   in Loop: Header=BB6_569 Depth=2
	s_and_not1_saveexec_b32 s13, s13
	s_cbranch_execz .LBB6_748
; %bb.747:                              ;   in Loop: Header=BB6_569 Depth=2
	s_waitcnt lgkmcnt(0)
	s_waitcnt_vscnt null, 0x0
	buffer_gl1_inv
	buffer_gl0_inv
	s_barrier
.LBB6_748:                              ;   in Loop: Header=BB6_569 Depth=2
	s_or_b32 exec_lo, exec_lo, s13
.LBB6_749:                              ;   in Loop: Header=BB6_569 Depth=2
	s_delay_alu instid0(SALU_CYCLE_1) | instskip(SKIP_1) | instid1(SALU_CYCLE_1)
	s_or_b32 exec_lo, exec_lo, s6
                                        ; implicit-def: $vgpr2
	s_and_saveexec_b32 s6, s7
	s_xor_b32 s6, exec_lo, s6
	s_cbranch_execz .LBB6_753
; %bb.750:                              ;   in Loop: Header=BB6_569 Depth=2
	v_and_b32_e32 v2, 16, v30
	v_cmp_lt_i32_e32 vcc_lo, 0, v51
	s_delay_alu instid0(VALU_DEP_2) | instskip(SKIP_1) | instid1(VALU_DEP_2)
	v_cmp_ne_u32_e64 s13, 0, v2
	v_and_b32_e32 v2, 16, v30
	s_and_b32 s14, s13, vcc_lo
	s_delay_alu instid0(SALU_CYCLE_1)
	s_and_saveexec_b32 s13, s14
	s_cbranch_execz .LBB6_752
; %bb.751:                              ;   in Loop: Header=BB6_569 Depth=2
	v_mov_b32_e32 v2, 1
	s_waitcnt lgkmcnt(0)
	s_waitcnt_vscnt null, 0x0
	buffer_gl1_inv
	buffer_gl0_inv
.LBB6_752:                              ;   in Loop: Header=BB6_569 Depth=2
	s_or_b32 exec_lo, exec_lo, s13
.LBB6_753:                              ;   in Loop: Header=BB6_569 Depth=2
	s_and_not1_saveexec_b32 s6, s6
	s_cbranch_execz .LBB6_775
; %bb.754:                              ;   in Loop: Header=BB6_569 Depth=2
	s_and_saveexec_b32 s13, s4
	s_delay_alu instid0(SALU_CYCLE_1)
	s_xor_b32 s13, exec_lo, s13
	s_cbranch_execz .LBB6_772
; %bb.755:                              ;   in Loop: Header=BB6_569 Depth=2
	s_and_saveexec_b32 s14, s1
	s_cbranch_execz .LBB6_771
; %bb.756:                              ;   in Loop: Header=BB6_569 Depth=2
	s_mov_b32 s16, exec_lo
	s_mov_b32 s15, exec_lo
	v_mbcnt_lo_u32_b32 v2, s16, 0
	;;#ASMSTART
	s_waitcnt lgkmcnt(0) vmcnt(0)
	;;#ASMEND
	s_delay_alu instid0(VALU_DEP_1)
	v_cmpx_eq_u32_e32 0, v2
	s_cbranch_execz .LBB6_758
; %bb.757:                              ;   in Loop: Header=BB6_569 Depth=2
	s_bcnt1_i32_b32 s16, s16
	s_delay_alu instid0(SALU_CYCLE_1)
	v_mov_b32_e32 v2, s16
	ds_add_u64 v0, v[2:3]
	s_cbranch_execnz .LBB6_1758
.LBB6_758:                              ;   in Loop: Header=BB6_569 Depth=2
	s_or_b32 exec_lo, exec_lo, s15
	s_cbranch_execnz .LBB6_1732
; %bb.759:                              ;   in Loop: Header=BB6_569 Depth=2
	ds_load_b64 v[8:9], v0
	v_add_co_u32 v12, vcc_lo, v12, v83
	v_add_co_ci_u32_e32 v13, vcc_lo, 0, v13, vcc_lo
	s_mov_b32 s15, exec_lo
	s_waitcnt lgkmcnt(0)
	s_delay_alu instid0(VALU_DEP_1)
	v_cmpx_lt_u64_e64 v[8:9], v[12:13]
	s_cbranch_execz .LBB6_770
; %bb.760:                              ;   in Loop: Header=BB6_569 Depth=2
	s_mov_b32 s16, 0
	s_mov_b32 s28, 0
                                        ; implicit-def: $sgpr17
                                        ; implicit-def: $sgpr20
	s_branch .LBB6_762
.LBB6_761:                              ;   in Loop: Header=BB6_762 Depth=3
	s_or_b32 exec_lo, exec_lo, s31
	s_delay_alu instid0(SALU_CYCLE_1) | instskip(NEXT) | instid1(SALU_CYCLE_1)
	s_and_b32 vcc_lo, exec_lo, vcc_lo
	s_or_b32 s16, vcc_lo, s16
	s_and_not1_b32 s17, s17, exec_lo
	s_and_b32 vcc_lo, s20, exec_lo
	s_delay_alu instid0(SALU_CYCLE_1)
	s_or_b32 s17, s17, vcc_lo
	s_and_not1_b32 exec_lo, exec_lo, s16
	s_cbranch_execz .LBB6_768
.LBB6_762:                              ;   Parent Loop BB6_51 Depth=1
                                        ;     Parent Loop BB6_569 Depth=2
                                        ; =>    This Inner Loop Header: Depth=3
	s_add_i32 s28, s28, 1
                                        ; implicit-def: $sgpr31
	s_delay_alu instid0(SALU_CYCLE_1) | instskip(SKIP_1) | instid1(SALU_CYCLE_1)
	s_cmpk_lg_i32 s28, 0x2710
	s_cselect_b32 s30, -1, 0
	s_and_b32 vcc_lo, exec_lo, s30
	s_cbranch_vccz .LBB6_766
.LBB6_763:                              ;   in Loop: Header=BB6_762 Depth=3
	s_and_not1_b32 s20, s20, exec_lo
	s_and_b32 s31, s31, exec_lo
	s_mov_b32 vcc_lo, -1
	s_or_b32 s20, s20, s31
	s_and_saveexec_b32 s31, s30
	s_cbranch_execz .LBB6_761
; %bb.764:                              ;   in Loop: Header=BB6_762 Depth=3
	s_sleep 1
	s_cbranch_execnz .LBB6_1818
; %bb.765:                              ;   in Loop: Header=BB6_762 Depth=3
	ds_load_b64 v[8:9], v0
	s_and_not1_b32 s20, s20, exec_lo
	s_waitcnt lgkmcnt(0)
	v_cmp_ge_u64_e32 vcc_lo, v[8:9], v[12:13]
	s_or_not1_b32 vcc_lo, vcc_lo, exec_lo
	s_branch .LBB6_761
.LBB6_766:                              ;   in Loop: Header=BB6_762 Depth=3
	s_cbranch_execnz .LBB6_1836
; %bb.767:                              ;   in Loop: Header=BB6_762 Depth=3
	ds_load_b64 v[8:9], v0
	s_and_not1_b32 s30, s30, exec_lo
	s_mov_b32 s28, 0
	s_mov_b32 s31, -1
	s_waitcnt lgkmcnt(0)
	s_waitcnt_vscnt null, 0x0
	flat_load_b32 v2, v[8:9] glc
	s_waitcnt vmcnt(0) lgkmcnt(0)
	buffer_gl1_inv
	buffer_gl0_inv
	v_cmp_eq_u32_e32 vcc_lo, 0, v2
	s_and_b32 vcc_lo, vcc_lo, exec_lo
	s_delay_alu instid0(SALU_CYCLE_1)
	s_or_b32 s30, s30, vcc_lo
	s_branch .LBB6_763
.LBB6_768:                              ;   in Loop: Header=BB6_569 Depth=2
	s_or_b32 exec_lo, exec_lo, s16
	s_and_saveexec_b32 s16, s17
	s_delay_alu instid0(SALU_CYCLE_1)
	s_xor_b32 s16, exec_lo, s16
	s_cbranch_execz .LBB6_770
; %bb.769:                              ;   in Loop: Header=BB6_569 Depth=2
	ds_store_b32 v0, v130
	s_cbranch_execnz .LBB6_1936
.LBB6_770:                              ;   in Loop: Header=BB6_569 Depth=2
	s_or_b32 exec_lo, exec_lo, s15
	;;#ASMSTART
	s_wakeup
	;;#ASMEND
.LBB6_771:                              ;   in Loop: Header=BB6_569 Depth=2
	s_or_b32 exec_lo, exec_lo, s14
.LBB6_772:                              ;   in Loop: Header=BB6_569 Depth=2
	s_and_not1_saveexec_b32 s13, s13
	s_cbranch_execz .LBB6_774
; %bb.773:                              ;   in Loop: Header=BB6_569 Depth=2
	;;#ASMSTART
	s_waitcnt lgkmcnt(0) vmcnt(0)
	;;#ASMEND
	s_waitcnt lgkmcnt(0)
	s_waitcnt_vscnt null, 0x0
	s_barrier
.LBB6_774:                              ;   in Loop: Header=BB6_569 Depth=2
	s_or_b32 exec_lo, exec_lo, s13
	v_and_b32_e32 v2, 16, v30
.LBB6_775:                              ;   in Loop: Header=BB6_569 Depth=2
	s_or_b32 exec_lo, exec_lo, s6
	s_delay_alu instid0(VALU_DEP_1) | instskip(SKIP_1) | instid1(SALU_CYCLE_1)
	v_cmp_ne_u32_e32 vcc_lo, 0, v2
	s_xor_b32 s6, s10, -1
	s_and_b32 s13, vcc_lo, s6
	s_delay_alu instid0(SALU_CYCLE_1)
	s_and_saveexec_b32 s6, s13
	s_cbranch_execz .LBB6_777
; %bb.776:                              ;   in Loop: Header=BB6_569 Depth=2
	s_waitcnt lgkmcnt(0)
	s_waitcnt_vscnt null, 0x0
	flat_store_b32 v[26:27], v130
.LBB6_777:                              ;   in Loop: Header=BB6_569 Depth=2
	s_or_b32 exec_lo, exec_lo, s6
	v_and_b32_e32 v2, 48, v30
	s_mov_b32 s6, exec_lo
	s_delay_alu instid0(VALU_DEP_1)
	v_cmpx_ne_u32_e32 0, v2
	s_cbranch_execz .LBB6_779
; %bb.778:                              ;   in Loop: Header=BB6_569 Depth=2
	v_add_co_u32 v22, vcc_lo, v22, 2
	v_add_co_ci_u32_e32 v23, vcc_lo, 0, v23, vcc_lo
	s_waitcnt lgkmcnt(0)
	s_waitcnt_vscnt null, 0x0
	flat_store_b64 v[20:21], v[22:23]
.LBB6_779:                              ;   in Loop: Header=BB6_569 Depth=2
	s_or_b32 exec_lo, exec_lo, s6
	v_add_nc_u32_e32 v52, v50, v52
	v_readlane_b32 s6, v47, 6
	v_readlane_b32 s20, v47, 8
	;; [unrolled: 1-line block ×4, first 2 shown]
	v_cmp_ge_i32_e32 vcc_lo, v52, v131
	s_xor_b32 s6, s6, -1
	v_readlane_b32 s31, v47, 11
	v_readlane_b32 s34, v47, 13
	s_mov_b32 s17, 0
	s_or_b32 s6, s6, vcc_lo
	s_mov_b32 s16, 2
	s_and_b32 s13, exec_lo, s6
	v_readlane_b32 s6, v47, 7
	s_or_b32 s20, s13, s20
	v_readlane_b32 s13, v47, 12
	s_delay_alu instid0(VALU_DEP_2)
	v_mov_b32_e32 v2, s6
	s_and_not1_b32 exec_lo, exec_lo, s20
	s_cbranch_execnz .LBB6_569
; %bb.780:                              ;   in Loop: Header=BB6_51 Depth=1
	s_or_b32 exec_lo, exec_lo, s20
	v_readlane_b32 s6, v47, 5
.LBB6_781:                              ;   in Loop: Header=BB6_51 Depth=1
	s_delay_alu instid0(VALU_DEP_1) | instskip(NEXT) | instid1(SALU_CYCLE_1)
	s_or_b32 exec_lo, exec_lo, s6
	s_mov_b32 s15, exec_lo
	v_cmpx_gt_i32_e32 2, v2
	s_cbranch_execz .LBB6_867
; %bb.782:                              ;   in Loop: Header=BB6_51 Depth=1
	v_cmp_eq_u32_e64 s6, 0, v2
	s_mov_b32 s16, s5
	s_mov_b32 s17, s12
	;; [unrolled: 1-line block ×6, first 2 shown]
.LBB6_783:                              ;   Parent Loop BB6_51 Depth=1
                                        ; =>  This Loop Header: Depth=2
                                        ;       Child Loop BB6_789 Depth 3
                                        ;       Child Loop BB6_821 Depth 3
	;; [unrolled: 1-line block ×3, first 2 shown]
	v_and_b32_e32 v2, 12, v30
	s_mov_b32 s20, -1
	s_mov_b32 s13, exec_lo
	s_delay_alu instid0(VALU_DEP_1)
	v_cmpx_ne_u32_e32 0, v2
	s_cbranch_execz .LBB6_797
; %bb.784:                              ;   in Loop: Header=BB6_783 Depth=2
	v_and_b32_e32 v2, 8, v30
	s_delay_alu instid0(VALU_DEP_1) | instskip(SKIP_3) | instid1(VALU_DEP_1)
	v_add_co_u32 v10, vcc_lo, v28, v2
	v_add_co_ci_u32_e32 v11, vcc_lo, 0, v29, vcc_lo
	v_add_co_u32 v8, vcc_lo, v22, 2
	v_add_co_ci_u32_e32 v9, vcc_lo, 0, v23, vcc_lo
	v_cmp_lt_u64_e32 vcc_lo, v[10:11], v[8:9]
	v_mov_b32_e32 v10, 1
	s_and_saveexec_b32 s20, vcc_lo
	s_cbranch_execz .LBB6_796
; %bb.785:                              ;   in Loop: Header=BB6_783 Depth=2
	v_mov_b32_e32 v10, 0
	s_mov_b32 s28, 0
                                        ; implicit-def: $sgpr34
	s_branch .LBB6_789
.LBB6_786:                              ;   in Loop: Header=BB6_789 Depth=3
	s_or_b32 exec_lo, exec_lo, s39
	v_mov_b32_e32 v11, 0
	s_or_not1_b32 s38, s38, exec_lo
.LBB6_787:                              ;   in Loop: Header=BB6_789 Depth=3
	s_or_b32 exec_lo, exec_lo, s37
	s_delay_alu instid0(VALU_DEP_1) | instskip(SKIP_2) | instid1(SALU_CYCLE_1)
	v_mov_b32_e32 v10, v11
	s_and_not1_b32 vcc_lo, s34, exec_lo
	s_and_b32 s34, s38, exec_lo
	s_or_b32 s34, vcc_lo, s34
.LBB6_788:                              ;   in Loop: Header=BB6_789 Depth=3
	s_or_b32 exec_lo, exec_lo, s36
	s_waitcnt vmcnt(0) lgkmcnt(0)
	v_add_co_u32 v53, vcc_lo, v28, v2
	v_add_co_ci_u32_e32 v54, vcc_lo, 0, v29, vcc_lo
	s_xor_b32 s36, s34, -1
	s_delay_alu instid0(VALU_DEP_1) | instskip(SKIP_1) | instid1(SALU_CYCLE_1)
	v_cmp_ge_u64_e32 vcc_lo, v[53:54], v[8:9]
	s_or_b32 vcc_lo, s36, vcc_lo
	s_and_b32 vcc_lo, exec_lo, vcc_lo
	s_delay_alu instid0(SALU_CYCLE_1) | instskip(NEXT) | instid1(SALU_CYCLE_1)
	s_or_b32 s28, vcc_lo, s28
	s_and_not1_b32 exec_lo, exec_lo, s28
	s_cbranch_execz .LBB6_795
.LBB6_789:                              ;   Parent Loop BB6_51 Depth=1
                                        ;     Parent Loop BB6_783 Depth=2
                                        ; =>    This Inner Loop Header: Depth=3
	s_sleep 1
	flat_load_b64 v[28:29], v[20:21] glc
	v_and_b32_e32 v11, 64, v30
	s_and_not1_b32 s34, s34, exec_lo
	s_mov_b32 s36, exec_lo
	s_delay_alu instid0(VALU_DEP_1)
	v_cmpx_eq_u32_e32 0, v11
	s_cbranch_execz .LBB6_788
; %bb.790:                              ;   in Loop: Header=BB6_789 Depth=3
	v_add_nc_u32_e32 v11, 1, v10
	s_mov_b32 s38, -1
	s_mov_b32 s37, exec_lo
	v_cmpx_lt_i32_e32 0x270e, v10
	s_cbranch_execz .LBB6_787
; %bb.791:                              ;   in Loop: Header=BB6_789 Depth=3
	s_cbranch_execnz .LBB6_1530
; %bb.792:                              ;   in Loop: Header=BB6_789 Depth=3
	ds_load_b64 v[10:11], v0
	s_mov_b32 s39, exec_lo
	s_waitcnt vmcnt(0) lgkmcnt(0)
	s_waitcnt_vscnt null, 0x0
	flat_load_b32 v10, v[10:11] glc
	s_waitcnt vmcnt(0) lgkmcnt(0)
	buffer_gl1_inv
	buffer_gl0_inv
	v_cmpx_ne_u32_e32 0, v10
	s_cbranch_execz .LBB6_786
; %bb.793:                              ;   in Loop: Header=BB6_789 Depth=3
	ds_store_b32 v0, v10
	s_cbranch_execnz .LBB6_1584
; %bb.794:                              ;   in Loop: Header=BB6_789 Depth=3
	v_or_b32_e32 v30, 64, v30
	s_xor_b32 s38, exec_lo, -1
	s_branch .LBB6_786
.LBB6_795:                              ;   in Loop: Header=BB6_783 Depth=2
	s_or_b32 exec_lo, exec_lo, s28
	v_and_b32_e32 v10, 12, v30
.LBB6_796:                              ;   in Loop: Header=BB6_783 Depth=2
	s_or_b32 exec_lo, exec_lo, s20
	s_delay_alu instid0(VALU_DEP_1)
	v_cmp_eq_u32_e32 vcc_lo, 0, v10
	;;#ASMSTART
	s_wakeup
	;;#ASMEND
	s_or_not1_b32 s20, vcc_lo, exec_lo
.LBB6_797:                              ;   in Loop: Header=BB6_783 Depth=2
	s_or_b32 exec_lo, exec_lo, s13
	v_sub_nc_u32_e32 v2, v131, v52
	s_xor_b32 s6, s6, -1
	s_delay_alu instid0(SALU_CYCLE_1) | instskip(NEXT) | instid1(SALU_CYCLE_1)
	s_and_b32 s6, exec_lo, s6
	s_or_b32 s31, s6, s31
	s_delay_alu instid0(VALU_DEP_1) | instskip(SKIP_1) | instid1(SALU_CYCLE_1)
	v_min_i32_e32 v50, v50, v2
	s_xor_b32 s13, s20, -1
	s_and_saveexec_b32 s6, s13
	s_cbranch_execz .LBB6_812
; %bb.798:                              ;   in Loop: Header=BB6_783 Depth=2
	v_and_b32_e32 v2, 0x108, v30
	s_mov_b32 s13, exec_lo
	s_delay_alu instid0(VALU_DEP_1)
	v_cmpx_ne_u32_e32 0x108, v2
	s_xor_b32 s13, exec_lo, s13
                                        ; implicit-def: $vgpr8_vgpr9
; %bb.799:                              ;   in Loop: Header=BB6_783 Depth=2
	v_and_b32_e32 v8, 7, v22
; %bb.800:                              ;   in Loop: Header=BB6_783 Depth=2
	s_and_not1_saveexec_b32 s13, s13
	s_cbranch_execz .LBB6_802
; %bb.801:                              ;   in Loop: Header=BB6_783 Depth=2
	v_and_b32_e32 v8, 7, v22
	v_ashrrev_i32_e32 v51, 31, v50
	s_delay_alu instid0(VALU_DEP_2) | instskip(NEXT) | instid1(VALU_DEP_2)
	v_mad_u64_u32 v[9:10], null, v8, 24, v[6:7]
	v_lshlrev_b64 v[53:54], 3, v[50:51]
	flat_store_b64 v[9:10], v[53:54] offset:8
.LBB6_802:                              ;   in Loop: Header=BB6_783 Depth=2
	s_or_b32 exec_lo, exec_lo, s13
	v_and_b32_e32 v2, 0x100, v30
	s_mov_b32 s13, -1
	s_mov_b32 s20, exec_lo
                                        ; implicit-def: $vgpr9_vgpr10
	s_delay_alu instid0(VALU_DEP_1)
	v_cmpx_ne_u32_e32 0, v2
	s_cbranch_execnz .LBB6_805
; %bb.803:                              ;   in Loop: Header=BB6_783 Depth=2
	s_or_b32 exec_lo, exec_lo, s20
	s_and_saveexec_b32 s20, s13
	s_cbranch_execnz .LBB6_808
.LBB6_804:                              ;   in Loop: Header=BB6_783 Depth=2
	s_or_b32 exec_lo, exec_lo, s20
	s_cbranch_execnz .LBB6_1526
	s_branch .LBB6_809
.LBB6_805:                              ;   in Loop: Header=BB6_783 Depth=2
	v_mad_u64_u32 v[53:54], null, v8, 24, v[6:7]
	s_mov_b32 s28, exec_lo
	s_delay_alu instid0(VALU_DEP_1) | instskip(NEXT) | instid1(VALU_DEP_1)
	v_mov_b32_e32 v2, v54
	v_mad_u64_u32 v[9:10], null, v3, 24, v[2:3]
	s_delay_alu instid0(VALU_DEP_1)
	v_mov_b32_e32 v54, v9
                                        ; implicit-def: $vgpr9_vgpr10
	flat_load_b32 v2, v[53:54]
	s_waitcnt vmcnt(0) lgkmcnt(0)
	v_cmp_ne_u32_e32 vcc_lo, 1, v2
	v_cmpx_eq_u32_e32 1, v2
	s_cbranch_execz .LBB6_807
; %bb.806:                              ;   in Loop: Header=BB6_783 Depth=2
	flat_load_b32 v9, v[53:54] offset:4 glc
	s_waitcnt vmcnt(0) lgkmcnt(0)
	v_ashrrev_i32_e32 v10, 31, v9
	s_delay_alu instid0(VALU_DEP_1)
	v_lshrrev_b64 v[9:10], 3, v[9:10]
.LBB6_807:                              ;   in Loop: Header=BB6_783 Depth=2
	s_or_b32 exec_lo, exec_lo, s28
	s_delay_alu instid0(SALU_CYCLE_1)
	s_or_not1_b32 s13, vcc_lo, exec_lo
	s_or_b32 exec_lo, exec_lo, s20
	s_and_saveexec_b32 s20, s13
	s_cbranch_execz .LBB6_804
.LBB6_808:                              ;   in Loop: Header=BB6_783 Depth=2
	v_mul_lo_u32 v2, v3, v81
	v_mul_lo_u32 v11, v8, v82
	v_mad_u64_u32 v[9:10], null, v8, v81, 0
	s_delay_alu instid0(VALU_DEP_1)
	v_add3_u32 v10, v10, v11, v2
	s_or_b32 exec_lo, exec_lo, s20
	s_cbranch_execnz .LBB6_1526
.LBB6_809:                              ;   in Loop: Header=BB6_783 Depth=2
	s_delay_alu instid0(VALU_DEP_1) | instskip(SKIP_2) | instid1(VALU_DEP_2)
	v_lshlrev_b64 v[8:9], 3, v[9:10]
	v_and_b32_e32 v2, 0x2000, v30
	s_mov_b32 s13, exec_lo
	v_add_co_u32 v8, vcc_lo, v24, v8
	s_delay_alu instid0(VALU_DEP_3)
	v_add_co_ci_u32_e32 v9, vcc_lo, v25, v9, vcc_lo
	ds_store_b64 v0, v[8:9]
	v_cmpx_ne_u32_e32 0, v2
	s_cbranch_execz .LBB6_811
; %bb.810:                              ;   in Loop: Header=BB6_783 Depth=2
	ds_load_b64 v[8:9], v0 offset:584
	s_waitcnt lgkmcnt(0)
	v_add_co_u32 v8, vcc_lo, v8, 1
	v_add_co_ci_u32_e32 v9, vcc_lo, 0, v9, vcc_lo
	ds_store_b64 v0, v[8:9] offset:584
.LBB6_811:                              ;   in Loop: Header=BB6_783 Depth=2
	s_or_b32 exec_lo, exec_lo, s13
	v_add_co_u32 v22, vcc_lo, v22, 2
	v_add_co_ci_u32_e32 v23, vcc_lo, 0, v23, vcc_lo
.LBB6_812:                              ;   in Loop: Header=BB6_783 Depth=2
	s_or_b32 exec_lo, exec_lo, s6
	s_and_saveexec_b32 s6, s3
	s_cbranch_execz .LBB6_834
; %bb.813:                              ;   in Loop: Header=BB6_783 Depth=2
	s_and_saveexec_b32 s13, s4
	s_delay_alu instid0(SALU_CYCLE_1)
	s_xor_b32 s13, exec_lo, s13
	s_cbranch_execz .LBB6_831
; %bb.814:                              ;   in Loop: Header=BB6_783 Depth=2
	s_and_saveexec_b32 s20, s1
	s_cbranch_execz .LBB6_830
; %bb.815:                              ;   in Loop: Header=BB6_783 Depth=2
	s_mov_b32 s34, exec_lo
	s_mov_b32 s28, exec_lo
	v_mbcnt_lo_u32_b32 v2, s34, 0
	s_waitcnt lgkmcnt(0)
	s_waitcnt_vscnt null, 0x0
	buffer_gl1_inv
	buffer_gl0_inv
	v_cmpx_eq_u32_e32 0, v2
	s_cbranch_execz .LBB6_817
; %bb.816:                              ;   in Loop: Header=BB6_783 Depth=2
	s_bcnt1_i32_b32 vcc_lo, s34
	s_delay_alu instid0(SALU_CYCLE_1)
	v_mov_b32_e32 v2, vcc_lo
	ds_add_u64 v0, v[2:3]
	s_cbranch_execnz .LBB6_1642
.LBB6_817:                              ;   in Loop: Header=BB6_783 Depth=2
	s_or_b32 exec_lo, exec_lo, s28
	s_cbranch_execnz .LBB6_1616
; %bb.818:                              ;   in Loop: Header=BB6_783 Depth=2
	ds_load_b64 v[8:9], v0
	v_add_co_u32 v12, vcc_lo, v12, v83
	v_add_co_ci_u32_e32 v13, vcc_lo, 0, v13, vcc_lo
	s_mov_b32 s28, exec_lo
	s_waitcnt lgkmcnt(0)
	s_delay_alu instid0(VALU_DEP_1)
	v_cmpx_lt_u64_e64 v[8:9], v[12:13]
	s_cbranch_execz .LBB6_829
; %bb.819:                              ;   in Loop: Header=BB6_783 Depth=2
	s_mov_b32 s34, 0
	s_mov_b32 s38, 0
                                        ; implicit-def: $sgpr36
                                        ; implicit-def: $sgpr37
	s_branch .LBB6_821
.LBB6_820:                              ;   in Loop: Header=BB6_821 Depth=3
	s_or_b32 exec_lo, exec_lo, s40
	s_delay_alu instid0(SALU_CYCLE_1) | instskip(NEXT) | instid1(SALU_CYCLE_1)
	s_and_b32 vcc_lo, exec_lo, vcc_lo
	s_or_b32 s34, vcc_lo, s34
	s_and_not1_b32 vcc_lo, s36, exec_lo
	s_and_b32 s36, s37, exec_lo
	s_delay_alu instid0(SALU_CYCLE_1)
	s_or_b32 s36, vcc_lo, s36
	s_and_not1_b32 exec_lo, exec_lo, s34
	s_cbranch_execz .LBB6_827
.LBB6_821:                              ;   Parent Loop BB6_51 Depth=1
                                        ;     Parent Loop BB6_783 Depth=2
                                        ; =>    This Inner Loop Header: Depth=3
	s_add_i32 s38, s38, 1
                                        ; implicit-def: $sgpr40
	s_delay_alu instid0(SALU_CYCLE_1) | instskip(SKIP_1) | instid1(SALU_CYCLE_1)
	s_cmpk_lg_i32 s38, 0x2710
	s_cselect_b32 s39, -1, 0
	s_and_b32 vcc_lo, exec_lo, s39
	s_cbranch_vccz .LBB6_825
.LBB6_822:                              ;   in Loop: Header=BB6_821 Depth=3
	s_and_not1_b32 s37, s37, exec_lo
	s_and_b32 s40, s40, exec_lo
	s_mov_b32 vcc_lo, -1
	s_or_b32 s37, s37, s40
	s_and_saveexec_b32 s40, s39
	s_cbranch_execz .LBB6_820
; %bb.823:                              ;   in Loop: Header=BB6_821 Depth=3
	s_sleep 1
	s_cbranch_execnz .LBB6_1686
; %bb.824:                              ;   in Loop: Header=BB6_821 Depth=3
	ds_load_b64 v[8:9], v0
	s_and_not1_b32 s37, s37, exec_lo
	s_waitcnt lgkmcnt(0)
	v_cmp_ge_u64_e32 vcc_lo, v[8:9], v[12:13]
	s_or_not1_b32 vcc_lo, vcc_lo, exec_lo
	s_branch .LBB6_820
.LBB6_825:                              ;   in Loop: Header=BB6_821 Depth=3
	s_cbranch_execnz .LBB6_1698
; %bb.826:                              ;   in Loop: Header=BB6_821 Depth=3
	ds_load_b64 v[8:9], v0
	s_and_not1_b32 s39, s39, exec_lo
	s_mov_b32 s38, 0
	s_mov_b32 s40, -1
	s_waitcnt lgkmcnt(0)
	flat_load_b32 v2, v[8:9] glc
	s_waitcnt vmcnt(0) lgkmcnt(0)
	buffer_gl1_inv
	buffer_gl0_inv
	v_cmp_eq_u32_e32 vcc_lo, 0, v2
	s_and_b32 vcc_lo, vcc_lo, exec_lo
	s_delay_alu instid0(SALU_CYCLE_1)
	s_or_b32 s39, s39, vcc_lo
	s_branch .LBB6_822
.LBB6_827:                              ;   in Loop: Header=BB6_783 Depth=2
	s_or_b32 exec_lo, exec_lo, s34
	s_and_saveexec_b32 vcc_lo, s36
	s_delay_alu instid0(SALU_CYCLE_1)
	s_xor_b32 vcc_lo, exec_lo, vcc_lo
	s_cbranch_execz .LBB6_829
; %bb.828:                              ;   in Loop: Header=BB6_783 Depth=2
	ds_store_b32 v0, v130
	s_cbranch_execnz .LBB6_1896
.LBB6_829:                              ;   in Loop: Header=BB6_783 Depth=2
	s_or_b32 exec_lo, exec_lo, s28
	;;#ASMSTART
	s_wakeup
	;;#ASMEND
.LBB6_830:                              ;   in Loop: Header=BB6_783 Depth=2
	s_or_b32 exec_lo, exec_lo, s20
.LBB6_831:                              ;   in Loop: Header=BB6_783 Depth=2
	s_and_not1_saveexec_b32 s13, s13
	s_cbranch_execz .LBB6_833
; %bb.832:                              ;   in Loop: Header=BB6_783 Depth=2
	s_waitcnt lgkmcnt(0)
	s_waitcnt_vscnt null, 0x0
	buffer_gl1_inv
	buffer_gl0_inv
	s_barrier
.LBB6_833:                              ;   in Loop: Header=BB6_783 Depth=2
	s_or_b32 exec_lo, exec_lo, s13
.LBB6_834:                              ;   in Loop: Header=BB6_783 Depth=2
	s_delay_alu instid0(SALU_CYCLE_1) | instskip(SKIP_1) | instid1(SALU_CYCLE_1)
	s_or_b32 exec_lo, exec_lo, s6
                                        ; implicit-def: $vgpr2
	s_and_saveexec_b32 s6, s7
	s_xor_b32 s6, exec_lo, s6
	s_cbranch_execz .LBB6_839
; %bb.835:                              ;   in Loop: Header=BB6_783 Depth=2
	s_cbranch_execnz .LBB6_1540
; %bb.836:                              ;   in Loop: Header=BB6_783 Depth=2
	ds_load_b32 v2, v0
	v_cmp_lt_i32_e32 vcc_lo, 0, v50
	s_waitcnt lgkmcnt(0)
	v_readfirstlane_b32 s13, v2
	v_and_b32_e32 v2, 16, v30
	s_delay_alu instid0(VALU_DEP_2) | instskip(NEXT) | instid1(VALU_DEP_1)
	s_cmp_eq_u32 s13, 0
	v_cmp_ne_u32_e64 s13, 0, v2
	s_cselect_b32 s20, -1, 0
	v_and_b32_e32 v2, 16, v30
	s_and_b32 s20, vcc_lo, s20
	s_delay_alu instid0(VALU_DEP_2) | instid1(SALU_CYCLE_1)
	s_and_b32 s20, s13, s20
	s_delay_alu instid0(SALU_CYCLE_1)
	s_and_saveexec_b32 s13, s20
	s_cbranch_execz .LBB6_838
; %bb.837:                              ;   in Loop: Header=BB6_783 Depth=2
	v_mov_b32_e32 v2, 1
	s_waitcnt_vscnt null, 0x0
	buffer_gl1_inv
	buffer_gl0_inv
.LBB6_838:                              ;   in Loop: Header=BB6_783 Depth=2
	s_or_b32 exec_lo, exec_lo, s13
.LBB6_839:                              ;   in Loop: Header=BB6_783 Depth=2
	s_and_not1_saveexec_b32 s6, s6
	s_cbranch_execz .LBB6_861
; %bb.840:                              ;   in Loop: Header=BB6_783 Depth=2
	s_and_saveexec_b32 s13, s4
	s_delay_alu instid0(SALU_CYCLE_1)
	s_xor_b32 s13, exec_lo, s13
	s_cbranch_execz .LBB6_858
; %bb.841:                              ;   in Loop: Header=BB6_783 Depth=2
	s_and_saveexec_b32 s20, s1
	s_cbranch_execz .LBB6_857
; %bb.842:                              ;   in Loop: Header=BB6_783 Depth=2
	s_mov_b32 s34, exec_lo
	s_mov_b32 s28, exec_lo
	v_mbcnt_lo_u32_b32 v2, s34, 0
	;;#ASMSTART
	s_waitcnt lgkmcnt(0) vmcnt(0)
	;;#ASMEND
	s_delay_alu instid0(VALU_DEP_1)
	v_cmpx_eq_u32_e32 0, v2
	s_cbranch_execz .LBB6_844
; %bb.843:                              ;   in Loop: Header=BB6_783 Depth=2
	s_bcnt1_i32_b32 vcc_lo, s34
	s_delay_alu instid0(SALU_CYCLE_1)
	v_mov_b32_e32 v2, vcc_lo
	ds_add_u64 v0, v[2:3]
	s_cbranch_execnz .LBB6_1652
.LBB6_844:                              ;   in Loop: Header=BB6_783 Depth=2
	s_or_b32 exec_lo, exec_lo, s28
	s_cbranch_execnz .LBB6_1640
; %bb.845:                              ;   in Loop: Header=BB6_783 Depth=2
	ds_load_b64 v[8:9], v0
	v_add_co_u32 v12, vcc_lo, v12, v83
	v_add_co_ci_u32_e32 v13, vcc_lo, 0, v13, vcc_lo
	s_mov_b32 s28, exec_lo
	s_waitcnt lgkmcnt(0)
	s_delay_alu instid0(VALU_DEP_1)
	v_cmpx_lt_u64_e64 v[8:9], v[12:13]
	s_cbranch_execz .LBB6_856
; %bb.846:                              ;   in Loop: Header=BB6_783 Depth=2
	s_mov_b32 s34, 0
	s_mov_b32 s38, 0
                                        ; implicit-def: $sgpr36
                                        ; implicit-def: $sgpr37
	s_branch .LBB6_848
.LBB6_847:                              ;   in Loop: Header=BB6_848 Depth=3
	s_or_b32 exec_lo, exec_lo, s40
	s_delay_alu instid0(SALU_CYCLE_1) | instskip(NEXT) | instid1(SALU_CYCLE_1)
	s_and_b32 vcc_lo, exec_lo, vcc_lo
	s_or_b32 s34, vcc_lo, s34
	s_and_not1_b32 vcc_lo, s36, exec_lo
	s_and_b32 s36, s37, exec_lo
	s_delay_alu instid0(SALU_CYCLE_1)
	s_or_b32 s36, vcc_lo, s36
	s_and_not1_b32 exec_lo, exec_lo, s34
	s_cbranch_execz .LBB6_854
.LBB6_848:                              ;   Parent Loop BB6_51 Depth=1
                                        ;     Parent Loop BB6_783 Depth=2
                                        ; =>    This Inner Loop Header: Depth=3
	s_add_i32 s38, s38, 1
                                        ; implicit-def: $sgpr40
	s_delay_alu instid0(SALU_CYCLE_1) | instskip(SKIP_1) | instid1(SALU_CYCLE_1)
	s_cmpk_lg_i32 s38, 0x2710
	s_cselect_b32 s39, -1, 0
	s_and_b32 vcc_lo, exec_lo, s39
	s_cbranch_vccz .LBB6_852
.LBB6_849:                              ;   in Loop: Header=BB6_848 Depth=3
	s_and_not1_b32 s37, s37, exec_lo
	s_and_b32 s40, s40, exec_lo
	s_mov_b32 vcc_lo, -1
	s_or_b32 s37, s37, s40
	s_and_saveexec_b32 s40, s39
	s_cbranch_execz .LBB6_847
; %bb.850:                              ;   in Loop: Header=BB6_848 Depth=3
	s_sleep 1
	s_cbranch_execnz .LBB6_1710
; %bb.851:                              ;   in Loop: Header=BB6_848 Depth=3
	ds_load_b64 v[8:9], v0
	s_and_not1_b32 s37, s37, exec_lo
	s_waitcnt lgkmcnt(0)
	v_cmp_ge_u64_e32 vcc_lo, v[8:9], v[12:13]
	s_or_not1_b32 vcc_lo, vcc_lo, exec_lo
	s_branch .LBB6_847
.LBB6_852:                              ;   in Loop: Header=BB6_848 Depth=3
	s_cbranch_execnz .LBB6_1722
; %bb.853:                              ;   in Loop: Header=BB6_848 Depth=3
	ds_load_b64 v[8:9], v0
	s_and_not1_b32 s39, s39, exec_lo
	s_mov_b32 s38, 0
	s_mov_b32 s40, -1
	s_waitcnt lgkmcnt(0)
	s_waitcnt_vscnt null, 0x0
	flat_load_b32 v2, v[8:9] glc
	s_waitcnt vmcnt(0) lgkmcnt(0)
	buffer_gl1_inv
	buffer_gl0_inv
	v_cmp_eq_u32_e32 vcc_lo, 0, v2
	s_and_b32 vcc_lo, vcc_lo, exec_lo
	s_delay_alu instid0(SALU_CYCLE_1)
	s_or_b32 s39, s39, vcc_lo
	s_branch .LBB6_849
.LBB6_854:                              ;   in Loop: Header=BB6_783 Depth=2
	s_or_b32 exec_lo, exec_lo, s34
	s_and_saveexec_b32 vcc_lo, s36
	s_delay_alu instid0(SALU_CYCLE_1)
	s_xor_b32 vcc_lo, exec_lo, vcc_lo
	s_cbranch_execz .LBB6_856
; %bb.855:                              ;   in Loop: Header=BB6_783 Depth=2
	ds_store_b32 v0, v130
	s_cbranch_execnz .LBB6_1908
.LBB6_856:                              ;   in Loop: Header=BB6_783 Depth=2
	s_or_b32 exec_lo, exec_lo, s28
	;;#ASMSTART
	s_wakeup
	;;#ASMEND
.LBB6_857:                              ;   in Loop: Header=BB6_783 Depth=2
	s_or_b32 exec_lo, exec_lo, s20
.LBB6_858:                              ;   in Loop: Header=BB6_783 Depth=2
	s_and_not1_saveexec_b32 s13, s13
	s_cbranch_execz .LBB6_860
; %bb.859:                              ;   in Loop: Header=BB6_783 Depth=2
	;;#ASMSTART
	s_waitcnt lgkmcnt(0) vmcnt(0)
	;;#ASMEND
	s_waitcnt lgkmcnt(0)
	s_waitcnt_vscnt null, 0x0
	s_barrier
.LBB6_860:                              ;   in Loop: Header=BB6_783 Depth=2
	s_or_b32 exec_lo, exec_lo, s13
	v_and_b32_e32 v2, 16, v30
.LBB6_861:                              ;   in Loop: Header=BB6_783 Depth=2
	s_or_b32 exec_lo, exec_lo, s6
	s_delay_alu instid0(VALU_DEP_1) | instskip(SKIP_1) | instid1(SALU_CYCLE_1)
	v_cmp_ne_u32_e32 vcc_lo, 0, v2
	s_xor_b32 s6, s10, -1
	s_and_b32 s13, vcc_lo, s6
	s_delay_alu instid0(SALU_CYCLE_1)
	s_and_saveexec_b32 s6, s13
	s_cbranch_execz .LBB6_863
; %bb.862:                              ;   in Loop: Header=BB6_783 Depth=2
	s_waitcnt lgkmcnt(0)
	s_waitcnt_vscnt null, 0x0
	flat_store_b32 v[26:27], v130
.LBB6_863:                              ;   in Loop: Header=BB6_783 Depth=2
	s_or_b32 exec_lo, exec_lo, s6
	v_and_b32_e32 v2, 48, v30
	s_mov_b32 s6, exec_lo
	s_delay_alu instid0(VALU_DEP_1)
	v_cmpx_ne_u32_e32 0, v2
	s_cbranch_execz .LBB6_865
; %bb.864:                              ;   in Loop: Header=BB6_783 Depth=2
	v_add_co_u32 v22, vcc_lo, v22, 2
	v_add_co_ci_u32_e32 v23, vcc_lo, 0, v23, vcc_lo
	s_waitcnt lgkmcnt(0)
	s_waitcnt_vscnt null, 0x0
	flat_store_b64 v[20:21], v[22:23]
.LBB6_865:                              ;   in Loop: Header=BB6_783 Depth=2
	s_or_b32 exec_lo, exec_lo, s6
	v_add_nc_u32_e32 v52, v50, v52
	s_mov_b32 s6, 0
	s_and_not1_b32 exec_lo, exec_lo, s31
	s_cbranch_execnz .LBB6_783
; %bb.866:                              ;   in Loop: Header=BB6_51 Depth=1
	s_or_b32 exec_lo, exec_lo, s31
	s_mov_b32 s31, s30
	s_mov_b32 s34, s12
	;; [unrolled: 1-line block ×5, first 2 shown]
.LBB6_867:                              ;   in Loop: Header=BB6_51 Depth=1
	v_writelane_b32 v47, s35, 10
	v_writelane_b32 v47, s31, 11
	;; [unrolled: 1-line block ×3, first 2 shown]
	s_or_b32 exec_lo, exec_lo, s15
	s_mov_b32 s16, s34
	s_mov_b32 s17, s14
	s_and_not1_b32 vcc_lo, exec_lo, s29
	s_cbranch_vccnz .LBB6_1163
; %bb.868:                              ;   in Loop: Header=BB6_51 Depth=1
	s_mov_b32 s6, 1
.LBB6_869:                              ;   Parent Loop BB6_51 Depth=1
                                        ; =>  This Loop Header: Depth=2
                                        ;       Child Loop BB6_871 Depth 3
                                        ;         Child Loop BB6_880 Depth 4
                                        ;         Child Loop BB6_912 Depth 4
                                        ;         Child Loop BB6_935 Depth 4
                                        ;         Child Loop BB6_960 Depth 4
                                        ;         Child Loop BB6_966 Depth 4
                                        ;           Child Loop BB6_967 Depth 5
                                        ;         Child Loop BB6_978 Depth 4
                                        ;         Child Loop BB6_984 Depth 4
                                        ;           Child Loop BB6_985 Depth 5
                                        ;         Child Loop BB6_999 Depth 4
                                        ;         Child Loop BB6_1005 Depth 4
	;; [unrolled: 1-line block ×6, first 2 shown]
                                        ;       Child Loop BB6_1080 Depth 3
                                        ;         Child Loop BB6_1086 Depth 4
                                        ;         Child Loop BB6_1116 Depth 4
	;; [unrolled: 1-line block ×3, first 2 shown]
	s_delay_alu instid0(SALU_CYCLE_1)
	v_writelane_b32 v47, s6, 16
	s_sub_i32 s6, s24, s6
	v_mov_b32_e32 v52, 0
	s_cmp_le_i32 s19, s6
	s_mov_b32 s31, 0
	s_cselect_b32 s13, s19, 0
	s_delay_alu instid0(SALU_CYCLE_1) | instskip(NEXT) | instid1(SALU_CYCLE_1)
	s_sub_i32 s6, s6, s13
	s_ashr_i32 s13, s6, 31
	v_mul_lo_u32 v2, v37, s6
	v_mad_u64_u32 v[8:9], null, v36, s6, 0
	v_mul_lo_u32 v10, v36, s13
	s_delay_alu instid0(VALU_DEP_1) | instskip(NEXT) | instid1(VALU_DEP_3)
	v_add3_u32 v9, v9, v10, v2
	v_sub_co_u32 v10, vcc_lo, v38, v8
	s_delay_alu instid0(VALU_DEP_2) | instskip(NEXT) | instid1(VALU_DEP_1)
	v_sub_co_ci_u32_e32 v11, vcc_lo, v39, v9, vcc_lo
	v_cmp_lt_i64_e32 vcc_lo, v[36:37], v[10:11]
	v_cndmask_b32_e32 v10, v10, v36, vcc_lo
	s_delay_alu instid0(VALU_DEP_1) | instskip(NEXT) | instid1(VALU_DEP_1)
	v_max_i32_e32 v66, 0, v10
	v_add_nc_u32_e32 v2, 31, v66
	s_delay_alu instid0(VALU_DEP_1) | instskip(NEXT) | instid1(VALU_DEP_1)
	v_lshrrev_b32_e32 v2, 1, v2
	v_and_b32_e32 v11, 0x3ffffff0, v2
	v_cmp_lt_i32_e32 vcc_lo, 0, v10
	v_mov_b32_e32 v2, 0
	s_delay_alu instid0(VALU_DEP_3) | instskip(SKIP_1) | instid1(SALU_CYCLE_1)
	v_max_i32_e32 v50, s25, v11
	s_and_b32 s6, s16, vcc_lo
	s_and_saveexec_b32 s30, s6
	s_cbranch_execz .LBB6_1078
; %bb.870:                              ;   in Loop: Header=BB6_869 Depth=2
	v_add_co_u32 v8, vcc_lo, v8, v48
	v_add_co_ci_u32_e32 v9, vcc_lo, v9, v49, vcc_lo
	v_mov_b32_e32 v52, 0
	s_mov_b32 s35, 1
	s_mov_b32 s34, -1
	s_delay_alu instid0(VALU_DEP_2)
	v_lshlrev_b64 v[54:55], 3, v[8:9]
.LBB6_871:                              ;   Parent Loop BB6_51 Depth=1
                                        ;     Parent Loop BB6_869 Depth=2
                                        ; =>    This Loop Header: Depth=3
                                        ;         Child Loop BB6_880 Depth 4
                                        ;         Child Loop BB6_912 Depth 4
                                        ;         Child Loop BB6_935 Depth 4
                                        ;         Child Loop BB6_960 Depth 4
                                        ;         Child Loop BB6_966 Depth 4
                                        ;           Child Loop BB6_967 Depth 5
                                        ;         Child Loop BB6_978 Depth 4
                                        ;         Child Loop BB6_984 Depth 4
                                        ;           Child Loop BB6_985 Depth 5
                                        ;         Child Loop BB6_999 Depth 4
                                        ;         Child Loop BB6_1005 Depth 4
	;; [unrolled: 1-line block ×6, first 2 shown]
	s_and_saveexec_b32 s6, s0
	s_cbranch_execz .LBB6_874
; %bb.872:                              ;   in Loop: Header=BB6_871 Depth=3
	s_cbranch_execnz .LBB6_1564
; %bb.873:                              ;   in Loop: Header=BB6_871 Depth=3
	ds_load_b128 v[8:11], v0
	v_ashrrev_i32_e32 v53, 31, v52
	s_delay_alu instid0(VALU_DEP_1)
	v_lshlrev_b64 v[64:65], 3, v[52:53]
	s_waitcnt lgkmcnt(0)
	v_add_co_u32 v2, vcc_lo, v10, v54
	v_add_co_ci_u32_e32 v51, vcc_lo, v11, v55, vcc_lo
	v_add_co_u32 v8, vcc_lo, v8, v54
	v_add_co_ci_u32_e32 v9, vcc_lo, v9, v55, vcc_lo
	s_delay_alu instid0(VALU_DEP_4) | instskip(NEXT) | instid1(VALU_DEP_4)
	v_add_co_u32 v2, vcc_lo, v2, v64
	v_add_co_ci_u32_e32 v51, vcc_lo, v51, v65, vcc_lo
	v_cmp_ne_u64_e32 vcc_lo, 0, v[10:11]
	v_add_co_u32 v8, s13, v8, v64
	s_delay_alu instid0(VALU_DEP_1) | instskip(NEXT) | instid1(VALU_DEP_4)
	v_add_co_ci_u32_e64 v9, s13, v9, v65, s13
	v_dual_cndmask_b32 v11, 0, v51 :: v_dual_cndmask_b32 v10, 0, v2
	ds_store_b64 v0, v[8:9]
	ds_store_b64 v0, v[10:11]
.LBB6_874:                              ;   in Loop: Header=BB6_871 Depth=3
	s_or_b32 exec_lo, exec_lo, s6
	v_and_b32_e32 v2, 12, v30
	s_mov_b32 s13, -1
	s_mov_b32 s6, exec_lo
	s_delay_alu instid0(VALU_DEP_1)
	v_cmpx_ne_u32_e32 0, v2
	s_cbranch_execz .LBB6_888
; %bb.875:                              ;   in Loop: Header=BB6_871 Depth=3
	v_and_b32_e32 v2, 8, v30
	s_delay_alu instid0(VALU_DEP_1) | instskip(SKIP_3) | instid1(VALU_DEP_1)
	v_add_co_u32 v10, vcc_lo, v28, v2
	v_add_co_ci_u32_e32 v11, vcc_lo, 0, v29, vcc_lo
	v_add_co_u32 v8, vcc_lo, v22, 2
	v_add_co_ci_u32_e32 v9, vcc_lo, 0, v23, vcc_lo
	v_cmp_lt_u64_e32 vcc_lo, v[10:11], v[8:9]
	v_mov_b32_e32 v10, 1
	s_and_saveexec_b32 s13, vcc_lo
	s_cbranch_execz .LBB6_887
; %bb.876:                              ;   in Loop: Header=BB6_871 Depth=3
	v_mov_b32_e32 v10, 0
	s_mov_b32 s14, 0
                                        ; implicit-def: $sgpr15
	s_branch .LBB6_880
.LBB6_877:                              ;   in Loop: Header=BB6_880 Depth=4
	s_or_b32 exec_lo, exec_lo, s37
	v_mov_b32_e32 v11, 0
	s_or_not1_b32 s36, s36, exec_lo
.LBB6_878:                              ;   in Loop: Header=BB6_880 Depth=4
	s_or_b32 exec_lo, exec_lo, s28
	s_delay_alu instid0(VALU_DEP_1) | instskip(SKIP_2) | instid1(SALU_CYCLE_1)
	v_mov_b32_e32 v10, v11
	s_and_not1_b32 s15, s15, exec_lo
	s_and_b32 s28, s36, exec_lo
	s_or_b32 s15, s15, s28
.LBB6_879:                              ;   in Loop: Header=BB6_880 Depth=4
	s_or_b32 exec_lo, exec_lo, s20
	s_waitcnt vmcnt(0) lgkmcnt(0)
	v_add_co_u32 v64, vcc_lo, v28, v2
	v_add_co_ci_u32_e32 v65, vcc_lo, 0, v29, vcc_lo
	s_xor_b32 s20, s15, -1
	s_delay_alu instid0(VALU_DEP_1) | instskip(SKIP_1) | instid1(SALU_CYCLE_1)
	v_cmp_ge_u64_e32 vcc_lo, v[64:65], v[8:9]
	s_or_b32 s20, s20, vcc_lo
	s_and_b32 s20, exec_lo, s20
	s_delay_alu instid0(SALU_CYCLE_1) | instskip(NEXT) | instid1(SALU_CYCLE_1)
	s_or_b32 s14, s20, s14
	s_and_not1_b32 exec_lo, exec_lo, s14
	s_cbranch_execz .LBB6_886
.LBB6_880:                              ;   Parent Loop BB6_51 Depth=1
                                        ;     Parent Loop BB6_869 Depth=2
                                        ;       Parent Loop BB6_871 Depth=3
                                        ; =>      This Inner Loop Header: Depth=4
	s_sleep 1
	flat_load_b64 v[28:29], v[20:21] glc
	v_and_b32_e32 v11, 64, v30
	s_and_not1_b32 s15, s15, exec_lo
	s_mov_b32 s20, exec_lo
	s_delay_alu instid0(VALU_DEP_1)
	v_cmpx_eq_u32_e32 0, v11
	s_cbranch_execz .LBB6_879
; %bb.881:                              ;   in Loop: Header=BB6_880 Depth=4
	v_add_nc_u32_e32 v11, 1, v10
	s_mov_b32 s36, -1
	s_mov_b32 s28, exec_lo
	v_cmpx_lt_i32_e32 0x270e, v10
	s_cbranch_execz .LBB6_878
; %bb.882:                              ;   in Loop: Header=BB6_880 Depth=4
	s_cbranch_execnz .LBB6_1606
; %bb.883:                              ;   in Loop: Header=BB6_880 Depth=4
	ds_load_b64 v[10:11], v0
	s_mov_b32 s37, exec_lo
	s_waitcnt vmcnt(0) lgkmcnt(0)
	s_waitcnt_vscnt null, 0x0
	flat_load_b32 v10, v[10:11] glc
	s_waitcnt vmcnt(0) lgkmcnt(0)
	buffer_gl1_inv
	buffer_gl0_inv
	v_cmpx_ne_u32_e32 0, v10
	s_cbranch_execz .LBB6_877
; %bb.884:                              ;   in Loop: Header=BB6_880 Depth=4
	ds_store_b32 v0, v10
	s_cbranch_execnz .LBB6_1684
; %bb.885:                              ;   in Loop: Header=BB6_880 Depth=4
	v_or_b32_e32 v30, 64, v30
	s_xor_b32 s36, exec_lo, -1
	s_branch .LBB6_877
.LBB6_886:                              ;   in Loop: Header=BB6_871 Depth=3
	s_or_b32 exec_lo, exec_lo, s14
	v_and_b32_e32 v10, 12, v30
.LBB6_887:                              ;   in Loop: Header=BB6_871 Depth=3
	s_or_b32 exec_lo, exec_lo, s13
	s_delay_alu instid0(VALU_DEP_1)
	v_cmp_eq_u32_e32 vcc_lo, 0, v10
	;;#ASMSTART
	s_wakeup
	;;#ASMEND
	s_or_not1_b32 s13, vcc_lo, exec_lo
.LBB6_888:                              ;   in Loop: Header=BB6_871 Depth=3
	s_or_b32 exec_lo, exec_lo, s6
	v_sub_nc_u32_e32 v2, v66, v52
	s_xor_b32 s13, s13, -1
	s_delay_alu instid0(VALU_DEP_1)
	v_min_i32_e32 v50, v50, v2
	s_and_saveexec_b32 s6, s13
	s_cbranch_execz .LBB6_903
; %bb.889:                              ;   in Loop: Header=BB6_871 Depth=3
	v_and_b32_e32 v2, 0x108, v30
	s_mov_b32 s13, exec_lo
	s_delay_alu instid0(VALU_DEP_1)
	v_cmpx_ne_u32_e32 0x108, v2
	s_xor_b32 s13, exec_lo, s13
                                        ; implicit-def: $vgpr8_vgpr9
; %bb.890:                              ;   in Loop: Header=BB6_871 Depth=3
	v_and_b32_e32 v8, 7, v22
; %bb.891:                              ;   in Loop: Header=BB6_871 Depth=3
	s_and_not1_saveexec_b32 s13, s13
	s_cbranch_execz .LBB6_893
; %bb.892:                              ;   in Loop: Header=BB6_871 Depth=3
	v_and_b32_e32 v8, 7, v22
	v_ashrrev_i32_e32 v51, 31, v50
	s_delay_alu instid0(VALU_DEP_2) | instskip(NEXT) | instid1(VALU_DEP_2)
	v_mad_u64_u32 v[9:10], null, v8, 24, v[6:7]
	v_lshlrev_b64 v[64:65], 3, v[50:51]
	flat_store_b64 v[9:10], v[64:65] offset:8
.LBB6_893:                              ;   in Loop: Header=BB6_871 Depth=3
	s_or_b32 exec_lo, exec_lo, s13
	v_and_b32_e32 v2, 0x100, v30
	s_mov_b32 s13, -1
	s_mov_b32 s14, exec_lo
                                        ; implicit-def: $vgpr9_vgpr10
	s_delay_alu instid0(VALU_DEP_1)
	v_cmpx_ne_u32_e32 0, v2
	s_cbranch_execnz .LBB6_896
; %bb.894:                              ;   in Loop: Header=BB6_871 Depth=3
	s_or_b32 exec_lo, exec_lo, s14
	s_and_saveexec_b32 s14, s13
	s_cbranch_execnz .LBB6_899
.LBB6_895:                              ;   in Loop: Header=BB6_871 Depth=3
	s_or_b32 exec_lo, exec_lo, s14
	s_cbranch_execnz .LBB6_1596
	s_branch .LBB6_900
.LBB6_896:                              ;   in Loop: Header=BB6_871 Depth=3
	v_mad_u64_u32 v[64:65], null, v8, 24, v[6:7]
	s_mov_b32 s15, exec_lo
	s_delay_alu instid0(VALU_DEP_1) | instskip(NEXT) | instid1(VALU_DEP_1)
	v_mov_b32_e32 v2, v65
	v_mad_u64_u32 v[9:10], null, v3, 24, v[2:3]
	s_delay_alu instid0(VALU_DEP_1)
	v_mov_b32_e32 v65, v9
                                        ; implicit-def: $vgpr9_vgpr10
	flat_load_b32 v2, v[64:65]
	s_waitcnt vmcnt(0) lgkmcnt(0)
	v_cmp_ne_u32_e32 vcc_lo, 1, v2
	v_cmpx_eq_u32_e32 1, v2
	s_cbranch_execz .LBB6_898
; %bb.897:                              ;   in Loop: Header=BB6_871 Depth=3
	flat_load_b32 v9, v[64:65] offset:4 glc
	s_waitcnt vmcnt(0) lgkmcnt(0)
	v_ashrrev_i32_e32 v10, 31, v9
	s_delay_alu instid0(VALU_DEP_1)
	v_lshrrev_b64 v[9:10], 3, v[9:10]
.LBB6_898:                              ;   in Loop: Header=BB6_871 Depth=3
	s_or_b32 exec_lo, exec_lo, s15
	s_delay_alu instid0(SALU_CYCLE_1)
	s_or_not1_b32 s13, vcc_lo, exec_lo
	s_or_b32 exec_lo, exec_lo, s14
	s_and_saveexec_b32 s14, s13
	s_cbranch_execz .LBB6_895
.LBB6_899:                              ;   in Loop: Header=BB6_871 Depth=3
	v_mul_lo_u32 v2, v3, v81
	v_mul_lo_u32 v11, v8, v82
	v_mad_u64_u32 v[9:10], null, v8, v81, 0
	s_delay_alu instid0(VALU_DEP_1)
	v_add3_u32 v10, v10, v11, v2
	s_or_b32 exec_lo, exec_lo, s14
	s_cbranch_execnz .LBB6_1596
.LBB6_900:                              ;   in Loop: Header=BB6_871 Depth=3
	s_delay_alu instid0(VALU_DEP_1) | instskip(SKIP_2) | instid1(VALU_DEP_2)
	v_lshlrev_b64 v[8:9], 3, v[9:10]
	v_and_b32_e32 v2, 0x2000, v30
	s_mov_b32 s13, exec_lo
	v_add_co_u32 v8, vcc_lo, v24, v8
	s_delay_alu instid0(VALU_DEP_3)
	v_add_co_ci_u32_e32 v9, vcc_lo, v25, v9, vcc_lo
	ds_store_b64 v0, v[8:9]
	v_cmpx_ne_u32_e32 0, v2
	s_cbranch_execz .LBB6_902
; %bb.901:                              ;   in Loop: Header=BB6_871 Depth=3
	ds_load_b64 v[8:9], v0 offset:584
	s_waitcnt lgkmcnt(0)
	v_add_co_u32 v8, vcc_lo, v8, 1
	v_add_co_ci_u32_e32 v9, vcc_lo, 0, v9, vcc_lo
	ds_store_b64 v0, v[8:9] offset:584
.LBB6_902:                              ;   in Loop: Header=BB6_871 Depth=3
	s_or_b32 exec_lo, exec_lo, s13
	v_add_co_u32 v22, vcc_lo, v22, 2
	v_add_co_ci_u32_e32 v23, vcc_lo, 0, v23, vcc_lo
.LBB6_903:                              ;   in Loop: Header=BB6_871 Depth=3
	s_or_b32 exec_lo, exec_lo, s6
	s_and_saveexec_b32 s6, s3
	s_cbranch_execz .LBB6_925
; %bb.904:                              ;   in Loop: Header=BB6_871 Depth=3
	s_and_saveexec_b32 s13, s4
	s_delay_alu instid0(SALU_CYCLE_1)
	s_xor_b32 s13, exec_lo, s13
	s_cbranch_execz .LBB6_922
; %bb.905:                              ;   in Loop: Header=BB6_871 Depth=3
	s_and_saveexec_b32 s14, s1
	s_cbranch_execz .LBB6_921
; %bb.906:                              ;   in Loop: Header=BB6_871 Depth=3
	s_mov_b32 s20, exec_lo
	s_mov_b32 s15, exec_lo
	v_mbcnt_lo_u32_b32 v2, s20, 0
	s_waitcnt lgkmcnt(0)
	s_waitcnt_vscnt null, 0x0
	buffer_gl1_inv
	buffer_gl0_inv
	v_cmpx_eq_u32_e32 0, v2
	s_cbranch_execz .LBB6_908
; %bb.907:                              ;   in Loop: Header=BB6_871 Depth=3
	s_bcnt1_i32_b32 s20, s20
	s_delay_alu instid0(SALU_CYCLE_1)
	v_mov_b32_e32 v2, s20
	ds_add_u64 v0, v[2:3]
	s_cbranch_execnz .LBB6_1740
.LBB6_908:                              ;   in Loop: Header=BB6_871 Depth=3
	s_or_b32 exec_lo, exec_lo, s15
	s_cbranch_execnz .LBB6_1712
; %bb.909:                              ;   in Loop: Header=BB6_871 Depth=3
	ds_load_b64 v[8:9], v0
	v_add_co_u32 v12, vcc_lo, v12, v83
	v_add_co_ci_u32_e32 v13, vcc_lo, 0, v13, vcc_lo
	s_mov_b32 s15, exec_lo
	s_waitcnt lgkmcnt(0)
	s_delay_alu instid0(VALU_DEP_1)
	v_cmpx_lt_u64_e64 v[8:9], v[12:13]
	s_cbranch_execz .LBB6_920
; %bb.910:                              ;   in Loop: Header=BB6_871 Depth=3
	s_mov_b32 s20, 0
	s_mov_b32 s37, 0
                                        ; implicit-def: $sgpr28
                                        ; implicit-def: $sgpr36
	s_branch .LBB6_912
.LBB6_911:                              ;   in Loop: Header=BB6_912 Depth=4
	s_or_b32 exec_lo, exec_lo, s39
	s_delay_alu instid0(SALU_CYCLE_1) | instskip(NEXT) | instid1(SALU_CYCLE_1)
	s_and_b32 vcc_lo, exec_lo, vcc_lo
	s_or_b32 s20, vcc_lo, s20
	s_and_not1_b32 s28, s28, exec_lo
	s_and_b32 vcc_lo, s36, exec_lo
	s_delay_alu instid0(SALU_CYCLE_1)
	s_or_b32 s28, s28, vcc_lo
	s_and_not1_b32 exec_lo, exec_lo, s20
	s_cbranch_execz .LBB6_918
.LBB6_912:                              ;   Parent Loop BB6_51 Depth=1
                                        ;     Parent Loop BB6_869 Depth=2
                                        ;       Parent Loop BB6_871 Depth=3
                                        ; =>      This Inner Loop Header: Depth=4
	s_add_i32 s37, s37, 1
                                        ; implicit-def: $sgpr39
	s_delay_alu instid0(SALU_CYCLE_1) | instskip(SKIP_1) | instid1(SALU_CYCLE_1)
	s_cmpk_lg_i32 s37, 0x2710
	s_cselect_b32 s38, -1, 0
	s_and_b32 vcc_lo, exec_lo, s38
	s_cbranch_vccz .LBB6_916
.LBB6_913:                              ;   in Loop: Header=BB6_912 Depth=4
	s_and_not1_b32 s36, s36, exec_lo
	s_and_b32 s39, s39, exec_lo
	s_mov_b32 vcc_lo, -1
	s_or_b32 s36, s36, s39
	s_and_saveexec_b32 s39, s38
	s_cbranch_execz .LBB6_911
; %bb.914:                              ;   in Loop: Header=BB6_912 Depth=4
	s_sleep 1
	s_cbranch_execnz .LBB6_1792
; %bb.915:                              ;   in Loop: Header=BB6_912 Depth=4
	ds_load_b64 v[8:9], v0
	s_and_not1_b32 s36, s36, exec_lo
	s_waitcnt lgkmcnt(0)
	v_cmp_ge_u64_e32 vcc_lo, v[8:9], v[12:13]
	s_or_not1_b32 vcc_lo, vcc_lo, exec_lo
	s_branch .LBB6_911
.LBB6_916:                              ;   in Loop: Header=BB6_912 Depth=4
	s_cbranch_execnz .LBB6_1812
; %bb.917:                              ;   in Loop: Header=BB6_912 Depth=4
	ds_load_b64 v[8:9], v0
	s_and_not1_b32 s38, s38, exec_lo
	s_mov_b32 s37, 0
	s_mov_b32 s39, -1
	s_waitcnt lgkmcnt(0)
	flat_load_b32 v2, v[8:9] glc
	s_waitcnt vmcnt(0) lgkmcnt(0)
	buffer_gl1_inv
	buffer_gl0_inv
	v_cmp_eq_u32_e32 vcc_lo, 0, v2
	s_and_b32 vcc_lo, vcc_lo, exec_lo
	s_delay_alu instid0(SALU_CYCLE_1)
	s_or_b32 s38, s38, vcc_lo
	s_branch .LBB6_913
.LBB6_918:                              ;   in Loop: Header=BB6_871 Depth=3
	s_or_b32 exec_lo, exec_lo, s20
	s_and_saveexec_b32 s20, s28
	s_delay_alu instid0(SALU_CYCLE_1)
	s_xor_b32 s20, exec_lo, s20
	s_cbranch_execz .LBB6_920
; %bb.919:                              ;   in Loop: Header=BB6_871 Depth=3
	ds_store_b32 v0, v130
	s_cbranch_execnz .LBB6_1926
.LBB6_920:                              ;   in Loop: Header=BB6_871 Depth=3
	s_or_b32 exec_lo, exec_lo, s15
	;;#ASMSTART
	s_wakeup
	;;#ASMEND
.LBB6_921:                              ;   in Loop: Header=BB6_871 Depth=3
	s_or_b32 exec_lo, exec_lo, s14
.LBB6_922:                              ;   in Loop: Header=BB6_871 Depth=3
	s_and_not1_saveexec_b32 s13, s13
	s_cbranch_execz .LBB6_924
; %bb.923:                              ;   in Loop: Header=BB6_871 Depth=3
	s_waitcnt lgkmcnt(0)
	s_waitcnt_vscnt null, 0x0
	buffer_gl1_inv
	buffer_gl0_inv
	s_barrier
.LBB6_924:                              ;   in Loop: Header=BB6_871 Depth=3
	s_or_b32 exec_lo, exec_lo, s13
.LBB6_925:                              ;   in Loop: Header=BB6_871 Depth=3
	s_delay_alu instid0(SALU_CYCLE_1)
	s_or_b32 exec_lo, exec_lo, s6
	s_cbranch_execnz .LBB6_1578
; %bb.926:                              ;   in Loop: Header=BB6_871 Depth=3
	ds_load_b32 v8, v0
	v_and_b32_e32 v2, 0x4000, v30
	s_xor_b32 s6, s2, -1
	s_delay_alu instid0(VALU_DEP_1) | instskip(SKIP_1) | instid1(SALU_CYCLE_1)
	v_cmp_ne_u32_e32 vcc_lo, 0, v2
	s_and_b32 s13, s6, vcc_lo
	s_and_saveexec_b32 s6, s13
	s_cbranch_execz .LBB6_948
; %bb.927:                              ;   in Loop: Header=BB6_871 Depth=3
	s_and_saveexec_b32 s13, s4
	s_delay_alu instid0(SALU_CYCLE_1)
	s_xor_b32 s13, exec_lo, s13
	s_cbranch_execz .LBB6_945
; %bb.928:                              ;   in Loop: Header=BB6_871 Depth=3
	s_and_saveexec_b32 s14, s1
	s_cbranch_execz .LBB6_944
; %bb.929:                              ;   in Loop: Header=BB6_871 Depth=3
	s_mov_b32 s20, exec_lo
	s_mov_b32 s15, exec_lo
	v_mbcnt_lo_u32_b32 v2, s20, 0
	s_waitcnt lgkmcnt(0)
	s_waitcnt_vscnt null, 0x0
	buffer_gl1_inv
	buffer_gl0_inv
	v_cmpx_eq_u32_e32 0, v2
	s_cbranch_execz .LBB6_931
; %bb.930:                              ;   in Loop: Header=BB6_871 Depth=3
	s_bcnt1_i32_b32 s20, s20
	s_delay_alu instid0(SALU_CYCLE_1)
	v_mov_b32_e32 v2, s20
	ds_add_u64 v0, v[2:3]
	s_cbranch_execnz .LBB6_1782
.LBB6_931:                              ;   in Loop: Header=BB6_871 Depth=3
	s_or_b32 exec_lo, exec_lo, s15
	s_cbranch_execnz .LBB6_1762
; %bb.932:                              ;   in Loop: Header=BB6_871 Depth=3
	ds_load_b64 v[9:10], v0
	v_add_co_u32 v12, vcc_lo, v12, v83
	v_add_co_ci_u32_e32 v13, vcc_lo, 0, v13, vcc_lo
	s_mov_b32 s15, exec_lo
	s_waitcnt lgkmcnt(0)
	s_delay_alu instid0(VALU_DEP_1)
	v_cmpx_lt_u64_e64 v[9:10], v[12:13]
	s_cbranch_execz .LBB6_943
; %bb.933:                              ;   in Loop: Header=BB6_871 Depth=3
	s_mov_b32 s20, 0
	s_mov_b32 s37, 0
                                        ; implicit-def: $sgpr28
                                        ; implicit-def: $sgpr36
	s_branch .LBB6_935
.LBB6_934:                              ;   in Loop: Header=BB6_935 Depth=4
	s_or_b32 exec_lo, exec_lo, s39
	s_delay_alu instid0(SALU_CYCLE_1) | instskip(NEXT) | instid1(SALU_CYCLE_1)
	s_and_b32 vcc_lo, exec_lo, vcc_lo
	s_or_b32 s20, vcc_lo, s20
	s_and_not1_b32 s28, s28, exec_lo
	s_and_b32 vcc_lo, s36, exec_lo
	s_delay_alu instid0(SALU_CYCLE_1)
	s_or_b32 s28, s28, vcc_lo
	s_and_not1_b32 exec_lo, exec_lo, s20
	s_cbranch_execz .LBB6_941
.LBB6_935:                              ;   Parent Loop BB6_51 Depth=1
                                        ;     Parent Loop BB6_869 Depth=2
                                        ;       Parent Loop BB6_871 Depth=3
                                        ; =>      This Inner Loop Header: Depth=4
	s_add_i32 s37, s37, 1
                                        ; implicit-def: $sgpr39
	s_delay_alu instid0(SALU_CYCLE_1) | instskip(SKIP_1) | instid1(SALU_CYCLE_1)
	s_cmpk_lg_i32 s37, 0x2710
	s_cselect_b32 s38, -1, 0
	s_and_b32 vcc_lo, exec_lo, s38
	s_cbranch_vccz .LBB6_939
.LBB6_936:                              ;   in Loop: Header=BB6_935 Depth=4
	s_and_not1_b32 s36, s36, exec_lo
	s_and_b32 s39, s39, exec_lo
	s_mov_b32 vcc_lo, -1
	s_or_b32 s36, s36, s39
	s_and_saveexec_b32 s39, s38
	s_cbranch_execz .LBB6_934
; %bb.937:                              ;   in Loop: Header=BB6_935 Depth=4
	s_sleep 1
	s_cbranch_execnz .LBB6_1850
; %bb.938:                              ;   in Loop: Header=BB6_935 Depth=4
	ds_load_b64 v[9:10], v0
	s_and_not1_b32 s36, s36, exec_lo
	s_waitcnt lgkmcnt(0)
	v_cmp_ge_u64_e32 vcc_lo, v[9:10], v[12:13]
	s_or_not1_b32 vcc_lo, vcc_lo, exec_lo
	s_branch .LBB6_934
.LBB6_939:                              ;   in Loop: Header=BB6_935 Depth=4
	s_cbranch_execnz .LBB6_1858
; %bb.940:                              ;   in Loop: Header=BB6_935 Depth=4
	ds_load_b64 v[9:10], v0
	s_and_not1_b32 s38, s38, exec_lo
	s_mov_b32 s37, 0
	s_mov_b32 s39, -1
	s_waitcnt lgkmcnt(0)
	flat_load_b32 v2, v[9:10] glc
	s_waitcnt vmcnt(0) lgkmcnt(0)
	buffer_gl1_inv
	buffer_gl0_inv
	v_cmp_eq_u32_e32 vcc_lo, 0, v2
	s_and_b32 vcc_lo, vcc_lo, exec_lo
	s_delay_alu instid0(SALU_CYCLE_1)
	s_or_b32 s38, s38, vcc_lo
	s_branch .LBB6_936
.LBB6_941:                              ;   in Loop: Header=BB6_871 Depth=3
	s_or_b32 exec_lo, exec_lo, s20
	s_and_saveexec_b32 s20, s28
	s_delay_alu instid0(SALU_CYCLE_1)
	s_xor_b32 s20, exec_lo, s20
	s_cbranch_execz .LBB6_943
; %bb.942:                              ;   in Loop: Header=BB6_871 Depth=3
	ds_store_b32 v0, v130
	s_cbranch_execnz .LBB6_1942
.LBB6_943:                              ;   in Loop: Header=BB6_871 Depth=3
	s_or_b32 exec_lo, exec_lo, s15
	;;#ASMSTART
	s_wakeup
	;;#ASMEND
.LBB6_944:                              ;   in Loop: Header=BB6_871 Depth=3
	s_or_b32 exec_lo, exec_lo, s14
.LBB6_945:                              ;   in Loop: Header=BB6_871 Depth=3
	s_and_not1_saveexec_b32 s13, s13
	s_cbranch_execz .LBB6_947
; %bb.946:                              ;   in Loop: Header=BB6_871 Depth=3
	s_waitcnt lgkmcnt(0)
	s_waitcnt_vscnt null, 0x0
	buffer_gl1_inv
	buffer_gl0_inv
	s_barrier
.LBB6_947:                              ;   in Loop: Header=BB6_871 Depth=3
	s_or_b32 exec_lo, exec_lo, s13
.LBB6_948:                              ;   in Loop: Header=BB6_871 Depth=3
	s_delay_alu instid0(SALU_CYCLE_1)
	s_or_b32 exec_lo, exec_lo, s6
	s_cbranch_execnz .LBB6_1636
; %bb.949:                              ;   in Loop: Header=BB6_871 Depth=3
	ds_load_b64 v[9:10], v0
	v_mov_b32_e32 v51, 0
	s_waitcnt lgkmcnt(0)
	v_cmp_eq_u64_e32 vcc_lo, 0, v[9:10]
	s_or_b32 s6, vcc_lo, vcc_lo
	s_delay_alu instid0(SALU_CYCLE_1)
	s_and_b32 vcc_lo, exec_lo, s6
	s_cbranch_vccnz .LBB6_1024
; %bb.950:                              ;   in Loop: Header=BB6_871 Depth=3
	v_cmp_eq_u32_e32 vcc_lo, 0, v8
	s_cbranch_execnz .LBB6_1702
; %bb.951:                              ;   in Loop: Header=BB6_871 Depth=3
	ds_load_b64 v[8:9], v0
	v_cndmask_b32_e32 v51, 0, v50, vcc_lo
	s_mov_b32 s6, -1
	s_delay_alu instid0(VALU_DEP_1)
	v_lshlrev_b32_e32 v2, 3, v51
	s_waitcnt lgkmcnt(0)
	v_cmp_ne_u64_e32 vcc_lo, 0, v[8:9]
	s_cbranch_vccz .LBB6_989
; %bb.952:                              ;   in Loop: Header=BB6_871 Depth=3
	s_and_saveexec_b32 s13, vcc_hi
	s_cbranch_execz .LBB6_954
; %bb.953:                              ;   in Loop: Header=BB6_871 Depth=3
	ds_load_b32 v8, v0 offset:720
	s_waitcnt lgkmcnt(0)
	v_and_b32_e32 v8, 15, v8
	s_delay_alu instid0(VALU_DEP_1)
	v_cmp_eq_u32_e32 vcc_lo, 0, v8
	s_or_not1_b32 s6, vcc_lo, exec_lo
.LBB6_954:                              ;   in Loop: Header=BB6_871 Depth=3
	s_or_b32 exec_lo, exec_lo, s13
	s_and_saveexec_b32 s13, s12
	s_cbranch_execz .LBB6_956
; %bb.955:                              ;   in Loop: Header=BB6_871 Depth=3
	ds_load_b32 v8, v0 offset:784
	s_waitcnt lgkmcnt(0)
	v_and_b32_e32 v8, 15, v8
	s_delay_alu instid0(VALU_DEP_1) | instskip(SKIP_3) | instid1(SALU_CYCLE_1)
	v_cmp_eq_u32_e32 vcc_lo, 0, v8
	s_and_b32 s14, s6, vcc_lo
	s_and_not1_b32 s6, s6, exec_lo
	s_and_b32 s14, s14, exec_lo
	s_or_b32 s6, s6, s14
.LBB6_956:                              ;   in Loop: Header=BB6_871 Depth=3
	s_or_b32 exec_lo, exec_lo, s13
	s_xor_b32 s6, s6, -1
	v_mov_b32_e32 v53, 0
	v_cndmask_b32_e64 v8, 0, 1, s6
	;;#ASMSTART
	;;#ASMEND
	s_delay_alu instid0(VALU_DEP_1)
	v_cmp_ne_u32_e32 vcc_lo, 0, v8
	v_dual_mov_b32 v8, v84 :: v_dual_mov_b32 v67, v2
	v_mov_b32_e32 v69, v0
	s_mov_b32 s13, -1
	s_cbranch_vccnz .LBB6_974
; %bb.957:                              ;   in Loop: Header=BB6_871 Depth=3
	v_ashrrev_i32_e32 v8, 31, v2
	s_mov_b32 s6, exec_lo
	s_delay_alu instid0(VALU_DEP_1) | instskip(NEXT) | instid1(VALU_DEP_1)
	v_lshrrev_b32_e32 v8, 21, v8
	v_add_nc_u32_e32 v8, v2, v8
	s_delay_alu instid0(VALU_DEP_1) | instskip(NEXT) | instid1(VALU_DEP_1)
	v_ashrrev_i32_e32 v53, 11, v8
	v_sub_nc_u32_e32 v70, v53, v84
	s_delay_alu instid0(VALU_DEP_1)
	v_cmpx_lt_i32_e32 0, v70
	s_cbranch_execz .LBB6_962
; %bb.958:                              ;   in Loop: Header=BB6_871 Depth=3
	s_cbranch_execnz .LBB6_1872
; %bb.959:                              ;   in Loop: Header=BB6_871 Depth=3
	ds_load_b64 v[8:9], v0
	ds_load_b128 v[131:134], v0
	s_mov_b32 s14, 0
	s_waitcnt lgkmcnt(1)
	v_add_co_u32 v8, vcc_lo, v8, v118
	v_add_co_ci_u32_e32 v9, vcc_lo, v9, v119, vcc_lo
	s_waitcnt lgkmcnt(0)
	v_add_co_u32 v10, vcc_lo, v131, v118
	v_add_co_ci_u32_e32 v11, vcc_lo, v132, v119, vcc_lo
	v_add_co_u32 v64, vcc_lo, v133, v118
	v_add_co_ci_u32_e32 v65, vcc_lo, v134, v119, vcc_lo
	s_set_inst_prefetch_distance 0x1
.LBB6_960:                              ;   Parent Loop BB6_51 Depth=1
                                        ;     Parent Loop BB6_869 Depth=2
                                        ;       Parent Loop BB6_871 Depth=3
                                        ; =>      This Inner Loop Header: Depth=4
	s_clause 0x3
	global_load_b128 v[131:134], v[8:9], off slc dlc
	global_load_b128 v[144:147], v[8:9], off offset:512 slc dlc
	global_load_b128 v[148:151], v[8:9], off offset:1024 slc dlc
	global_load_b128 v[160:163], v[8:9], off offset:1536 slc dlc
	v_sub_nc_u32_e32 v70, v70, v83
	v_add_co_u32 v8, vcc_lo, v8, v128
	v_add_co_ci_u32_e32 v9, vcc_lo, v9, v129, vcc_lo
	s_delay_alu instid0(VALU_DEP_3)
	v_cmp_gt_i32_e32 vcc_lo, 1, v70
	s_waitcnt vmcnt(3)
	global_store_b128 v[10:11], v[131:134], off glc slc dlc
	s_waitcnt vmcnt(2)
	global_store_b128 v[10:11], v[144:147], off offset:512 glc slc dlc
	s_waitcnt vmcnt(1)
	global_store_b128 v[10:11], v[148:151], off offset:1024 glc slc dlc
	;; [unrolled: 2-line block ×3, first 2 shown]
	s_clause 0x3
	global_store_b128 v[64:65], v[131:134], off glc slc dlc
	global_store_b128 v[64:65], v[144:147], off offset:512 glc slc dlc
	global_store_b128 v[64:65], v[148:151], off offset:1024 glc slc dlc
	global_store_b128 v[64:65], v[160:163], off offset:1536 glc slc dlc
	v_add_co_u32 v10, s13, v10, v128
	s_delay_alu instid0(VALU_DEP_1) | instskip(SKIP_1) | instid1(VALU_DEP_1)
	v_add_co_ci_u32_e64 v11, s13, v11, v129, s13
	v_add_co_u32 v64, s13, v64, v128
	v_add_co_ci_u32_e64 v65, s13, v65, v129, s13
	s_or_b32 s14, vcc_lo, s14
	s_delay_alu instid0(SALU_CYCLE_1)
	s_and_not1_b32 exec_lo, exec_lo, s14
	s_cbranch_execnz .LBB6_960
; %bb.961:                              ;   in Loop: Header=BB6_871 Depth=3
	s_set_inst_prefetch_distance 0x2
	s_or_b32 exec_lo, exec_lo, s14
.LBB6_962:                              ;   in Loop: Header=BB6_871 Depth=3
	s_delay_alu instid0(SALU_CYCLE_1) | instskip(SKIP_3) | instid1(VALU_DEP_1)
	s_or_b32 exec_lo, exec_lo, s6
	v_dual_mov_b32 v53, 0 :: v_dual_lshlrev_b32 v68, 11, v53
	s_mov_b32 s13, 0
	s_mov_b32 s6, exec_lo
                                        ; implicit-def: $vgpr67
                                        ; implicit-def: $vgpr69
                                        ; implicit-def: $vgpr8
	v_cmpx_ne_u32_e64 v2, v68
	s_cbranch_execz .LBB6_973
; %bb.963:                              ;   in Loop: Header=BB6_871 Depth=3
	v_lshlrev_b32_e32 v8, 5, v70
	v_sub_nc_u32_e32 v10, v2, v68
	s_mov_b32 s20, exec_lo
	s_delay_alu instid0(VALU_DEP_2) | instskip(NEXT) | instid1(VALU_DEP_2)
	v_sub_nc_u32_e32 v8, v85, v8
	v_ashrrev_i32_e32 v11, 31, v10
	s_delay_alu instid0(VALU_DEP_2) | instskip(NEXT) | instid1(VALU_DEP_2)
	v_ashrrev_i32_e32 v9, 31, v8
	v_lshrrev_b32_e32 v11, 23, v11
	s_delay_alu instid0(VALU_DEP_2) | instskip(NEXT) | instid1(VALU_DEP_2)
	v_lshrrev_b32_e32 v9, 27, v9
	v_add_nc_u32_e32 v11, v10, v11
	s_delay_alu instid0(VALU_DEP_2) | instskip(NEXT) | instid1(VALU_DEP_2)
	v_add_nc_u32_e32 v9, v8, v9
	v_and_b32_e32 v70, 0xfffffe00, v11
	v_ashrrev_i32_e32 v11, 9, v11
	s_delay_alu instid0(VALU_DEP_3) | instskip(NEXT) | instid1(VALU_DEP_3)
	v_and_b32_e32 v53, 0xffffffe0, v9
	v_sub_nc_u32_e32 v131, v10, v70
	v_ashrrev_i32_e32 v9, 5, v9
	s_delay_alu instid0(VALU_DEP_3) | instskip(NEXT) | instid1(VALU_DEP_3)
	v_sub_nc_u32_e32 v71, v8, v53
	v_cmp_lt_i32_e64 s13, 15, v131
	s_delay_alu instid0(VALU_DEP_2) | instskip(NEXT) | instid1(VALU_DEP_2)
	v_lshlrev_b32_e32 v8, 4, v71
	v_add_co_ci_u32_e64 v11, vcc_lo, 0, v11, s13
	s_delay_alu instid0(VALU_DEP_2) | instskip(NEXT) | instid1(VALU_DEP_2)
	v_lshl_add_u32 v8, v9, 9, v8
	v_sub_nc_u32_e32 v132, v11, v9
	s_delay_alu instid0(VALU_DEP_2) | instskip(NEXT) | instid1(VALU_DEP_1)
	v_sub_nc_u32_e32 v53, v10, v8
	v_cmpx_lt_i32_e32 15, v53
	s_cbranch_execz .LBB6_970
; %bb.964:                              ;   in Loop: Header=BB6_871 Depth=3
	s_cbranch_execnz .LBB6_1910
; %bb.965:                              ;   in Loop: Header=BB6_871 Depth=3
	ds_load_b64 v[9:10], v0
	ds_load_b128 v[144:147], v0
	v_add_nc_u32_e32 v8, v8, v68
	s_mov_b32 s28, 0
	s_delay_alu instid0(VALU_DEP_1) | instskip(SKIP_2) | instid1(VALU_DEP_2)
	v_ashrrev_i32_e32 v11, 31, v8
	s_waitcnt lgkmcnt(1)
	v_add_co_u32 v64, vcc_lo, v9, v8
	v_add_co_ci_u32_e32 v65, vcc_lo, v10, v11, vcc_lo
	s_waitcnt lgkmcnt(0)
	v_add_co_u32 v67, vcc_lo, v144, v8
	v_add_co_ci_u32_e32 v69, vcc_lo, v145, v11, vcc_lo
	v_add_co_u32 v133, vcc_lo, v146, v8
	v_add_co_ci_u32_e32 v134, vcc_lo, v147, v11, vcc_lo
.LBB6_966:                              ;   Parent Loop BB6_51 Depth=1
                                        ;     Parent Loop BB6_869 Depth=2
                                        ;       Parent Loop BB6_871 Depth=3
                                        ; =>      This Loop Header: Depth=4
                                        ;           Child Loop BB6_967 Depth 5
	global_load_b128 v[8:11], v[64:65], off slc dlc
	s_mov_b64 s[14:15], 0
	s_mov_b32 s36, -1
.LBB6_967:                              ;   Parent Loop BB6_51 Depth=1
                                        ;     Parent Loop BB6_869 Depth=2
                                        ;       Parent Loop BB6_871 Depth=3
                                        ;         Parent Loop BB6_966 Depth=4
                                        ; =>        This Inner Loop Header: Depth=5
	s_cmp_eq_u32 s14, 0
	v_cndmask_b32_e64 v135, 0, 1, s36
	s_cselect_b32 vcc_lo, -1, 0
	s_cmp_eq_u32 s14, 1
	s_mov_b32 s36, 0
	s_cselect_b32 s14, -1, 0
	s_delay_alu instid0(SALU_CYCLE_1) | instskip(SKIP_1) | instid1(VALU_DEP_2)
	v_cndmask_b32_e64 v144, v67, v133, s14
	v_cndmask_b32_e64 v145, v69, v134, s14
	v_add_co_u32 v146, s15, 0x200, v144
	s_delay_alu instid0(VALU_DEP_1) | instskip(SKIP_1) | instid1(VALU_DEP_3)
	v_add_co_ci_u32_e64 v147, s15, 0, v145, s15
	v_cmp_ne_u32_e64 s15, 1, v135
	v_cndmask_b32_e64 v133, v133, v146, s14
	v_cndmask_b32_e32 v67, v67, v146, vcc_lo
	s_delay_alu instid0(VALU_DEP_4)
	v_cndmask_b32_e64 v134, v134, v147, s14
	v_cndmask_b32_e32 v69, v69, v147, vcc_lo
	s_and_b32 vcc_lo, exec_lo, s15
	s_mov_b64 s[14:15], 1
	s_waitcnt vmcnt(0)
	global_store_b128 v[144:145], v[8:11], off glc slc dlc
	s_cbranch_vccz .LBB6_967
; %bb.968:                              ;   in Loop: Header=BB6_966 Depth=4
	v_add_co_u32 v67, vcc_lo, v67, v97
	v_sub_nc_u32_e32 v53, v53, v87
	v_add_co_ci_u32_e32 v69, vcc_lo, v69, v100, vcc_lo
	v_add_co_u32 v133, vcc_lo, v133, v97
	v_add_co_ci_u32_e32 v134, vcc_lo, v134, v100, vcc_lo
	s_delay_alu instid0(VALU_DEP_4) | instskip(SKIP_1) | instid1(VALU_DEP_1)
	v_cmp_gt_i32_e32 vcc_lo, 16, v53
	v_add_co_u32 v64, s14, v102, v64
	v_add_co_ci_u32_e64 v65, s14, v103, v65, s14
	v_sub_nc_u32_e32 v132, v132, v83
	s_or_b32 s28, vcc_lo, s28
	s_delay_alu instid0(SALU_CYCLE_1)
	s_and_not1_b32 exec_lo, exec_lo, s28
	s_cbranch_execnz .LBB6_966
; %bb.969:                              ;   in Loop: Header=BB6_871 Depth=3
	s_or_b32 exec_lo, exec_lo, s28
.LBB6_970:                              ;   in Loop: Header=BB6_871 Depth=3
	s_delay_alu instid0(SALU_CYCLE_1) | instskip(SKIP_4) | instid1(VALU_DEP_2)
	s_or_b32 exec_lo, exec_lo, s20
	v_and_b32_e32 v9, 8, v2
	v_mov_b32_e32 v53, 0
	s_mov_b32 s14, 0
	s_mov_b32 s15, exec_lo
                                        ; implicit-def: $vgpr69
                                        ; implicit-def: $vgpr8
	v_cndmask_b32_e64 v67, v131, v9, s13
	s_delay_alu instid0(VALU_DEP_1)
	v_cmpx_ne_u32_e32 0, v67
	s_cbranch_execz .LBB6_972
; %bb.971:                              ;   in Loop: Header=BB6_871 Depth=3
	v_cmp_lt_i32_e32 vcc_lo, 0, v132
	v_sub_nc_u32_e32 v9, v131, v9
	s_mov_b32 s14, exec_lo
	v_cndmask_b32_e32 v8, 0, v83, vcc_lo
	s_delay_alu instid0(VALU_DEP_2) | instskip(NEXT) | instid1(VALU_DEP_2)
	v_cndmask_b32_e64 v9, 0, v9, s13
	v_sub_nc_u32_e32 v8, v8, v132
	s_delay_alu instid0(VALU_DEP_2) | instskip(NEXT) | instid1(VALU_DEP_2)
	v_add3_u32 v53, v70, v68, v9
	v_lshl_add_u32 v69, v8, 5, v71
	s_delay_alu instid0(VALU_DEP_1) | instskip(NEXT) | instid1(VALU_DEP_1)
	v_ashrrev_i32_e32 v8, 31, v69
	v_lshrrev_b32_e32 v8, 27, v8
	s_delay_alu instid0(VALU_DEP_1) | instskip(NEXT) | instid1(VALU_DEP_1)
	v_add_nc_u32_e32 v8, v69, v8
	v_ashrrev_i32_e32 v8, 5, v8
.LBB6_972:                              ;   in Loop: Header=BB6_871 Depth=3
	s_or_b32 exec_lo, exec_lo, s15
	s_delay_alu instid0(SALU_CYCLE_1)
	s_and_b32 s13, s14, exec_lo
.LBB6_973:                              ;   in Loop: Header=BB6_871 Depth=3
	s_or_b32 exec_lo, exec_lo, s6
.LBB6_974:                              ;   in Loop: Header=BB6_871 Depth=3
	s_and_saveexec_b32 s6, s13
	s_cbranch_execz .LBB6_988
; %bb.975:                              ;   in Loop: Header=BB6_871 Depth=3
	v_ashrrev_i32_e32 v9, 31, v67
	s_mov_b32 s14, exec_lo
	s_delay_alu instid0(VALU_DEP_1) | instskip(NEXT) | instid1(VALU_DEP_1)
	v_lshrrev_b32_e32 v9, 22, v9
	v_add_nc_u32_e32 v9, v67, v9
	s_delay_alu instid0(VALU_DEP_1) | instskip(NEXT) | instid1(VALU_DEP_1)
	v_ashrrev_i32_e32 v70, 10, v9
	v_sub_nc_u32_e32 v68, v70, v8
	s_delay_alu instid0(VALU_DEP_1)
	v_cmpx_lt_i32_e32 0, v68
	s_cbranch_execz .LBB6_980
; %bb.976:                              ;   in Loop: Header=BB6_871 Depth=3
	s_cbranch_execnz .LBB6_1868
; %bb.977:                              ;   in Loop: Header=BB6_871 Depth=3
	v_ashrrev_i32_e32 v9, 31, v69
	v_lshlrev_b32_e32 v8, 10, v8
	s_mov_b32 s15, 0
	ds_load_b128 v[131:134], v0
	v_lshrrev_b32_e32 v9, 27, v9
	s_delay_alu instid0(VALU_DEP_1) | instskip(NEXT) | instid1(VALU_DEP_1)
	v_add_nc_u32_e32 v9, v69, v9
	v_and_b32_e32 v11, 0x1fffffe0, v9
	ds_load_b64 v[9:10], v0
	v_sub_nc_u32_e32 v11, v69, v11
	s_delay_alu instid0(VALU_DEP_1) | instskip(NEXT) | instid1(VALU_DEP_1)
	v_lshlrev_b32_e32 v11, 3, v11
	v_add3_u32 v64, v11, v53, v8
	s_delay_alu instid0(VALU_DEP_1) | instskip(SKIP_2) | instid1(VALU_DEP_2)
	v_ashrrev_i32_e32 v65, 31, v64
	s_waitcnt lgkmcnt(0)
	v_add_co_u32 v8, vcc_lo, v9, v64
	v_add_co_ci_u32_e32 v9, vcc_lo, v10, v65, vcc_lo
	v_add_co_u32 v10, vcc_lo, v131, v64
	v_add_co_ci_u32_e32 v11, vcc_lo, v132, v65, vcc_lo
	v_add_co_u32 v64, vcc_lo, v133, v64
	v_add_co_ci_u32_e32 v65, vcc_lo, v134, v65, vcc_lo
	s_set_inst_prefetch_distance 0x1
.LBB6_978:                              ;   Parent Loop BB6_51 Depth=1
                                        ;     Parent Loop BB6_869 Depth=2
                                        ;       Parent Loop BB6_871 Depth=3
                                        ; =>      This Inner Loop Header: Depth=4
	s_clause 0x3
	flat_load_b64 v[131:132], v[8:9] slc dlc
	flat_load_b64 v[133:134], v[8:9] offset:256 slc dlc
	flat_load_b64 v[144:145], v[8:9] offset:512 slc dlc
	;; [unrolled: 1-line block ×3, first 2 shown]
	v_sub_nc_u32_e32 v68, v68, v83
	v_add_co_u32 v8, vcc_lo, v8, v113
	v_add_co_ci_u32_e32 v9, vcc_lo, v9, v114, vcc_lo
	s_delay_alu instid0(VALU_DEP_3)
	v_cmp_gt_i32_e32 vcc_lo, 1, v68
	s_waitcnt vmcnt(3) lgkmcnt(3)
	flat_store_b64 v[10:11], v[131:132] glc slc dlc
	s_waitcnt vmcnt(2) lgkmcnt(3)
	flat_store_b64 v[10:11], v[133:134] offset:256 glc slc dlc
	s_waitcnt vmcnt(1) lgkmcnt(3)
	flat_store_b64 v[10:11], v[144:145] offset:512 glc slc dlc
	;; [unrolled: 2-line block ×3, first 2 shown]
	s_clause 0x3
	flat_store_b64 v[64:65], v[131:132] glc slc dlc
	flat_store_b64 v[64:65], v[133:134] offset:256 glc slc dlc
	flat_store_b64 v[64:65], v[144:145] offset:512 glc slc dlc
	;; [unrolled: 1-line block ×3, first 2 shown]
	v_add_co_u32 v10, s13, v10, v113
	s_delay_alu instid0(VALU_DEP_1) | instskip(SKIP_1) | instid1(VALU_DEP_1)
	v_add_co_ci_u32_e64 v11, s13, v11, v114, s13
	v_add_co_u32 v64, s13, v64, v113
	v_add_co_ci_u32_e64 v65, s13, v65, v114, s13
	s_or_b32 s15, vcc_lo, s15
	s_delay_alu instid0(SALU_CYCLE_1)
	s_and_not1_b32 exec_lo, exec_lo, s15
	s_cbranch_execnz .LBB6_978
; %bb.979:                              ;   in Loop: Header=BB6_871 Depth=3
	s_set_inst_prefetch_distance 0x2
	s_or_b32 exec_lo, exec_lo, s15
.LBB6_980:                              ;   in Loop: Header=BB6_871 Depth=3
	s_delay_alu instid0(SALU_CYCLE_1) | instskip(SKIP_2) | instid1(VALU_DEP_1)
	s_or_b32 exec_lo, exec_lo, s14
	v_lshlrev_b32_e32 v8, 10, v70
	s_mov_b32 s20, exec_lo
	v_cmpx_ne_u32_e64 v67, v8
	s_cbranch_execz .LBB6_987
; %bb.981:                              ;   in Loop: Header=BB6_871 Depth=3
	v_ashrrev_i32_e32 v9, 31, v69
	v_lshlrev_b32_e32 v10, 5, v68
	s_delay_alu instid0(VALU_DEP_2) | instskip(NEXT) | instid1(VALU_DEP_1)
	v_lshrrev_b32_e32 v9, 27, v9
	v_add_nc_u32_e32 v9, v69, v9
	s_delay_alu instid0(VALU_DEP_1) | instskip(NEXT) | instid1(VALU_DEP_1)
	v_and_b32_e32 v9, 0xffffffe0, v9
	v_sub_nc_u32_e32 v9, v69, v9
	s_delay_alu instid0(VALU_DEP_1) | instskip(NEXT) | instid1(VALU_DEP_1)
	v_sub_nc_u32_e32 v9, v9, v10
	v_ashrrev_i32_e32 v10, 31, v9
	s_delay_alu instid0(VALU_DEP_1) | instskip(NEXT) | instid1(VALU_DEP_1)
	v_lshrrev_b32_e32 v10, 27, v10
	v_add_nc_u32_e32 v10, v9, v10
	s_delay_alu instid0(VALU_DEP_1) | instskip(SKIP_1) | instid1(VALU_DEP_2)
	v_and_b32_e32 v11, 0x1fffffe0, v10
	v_lshlrev_b32_e32 v10, 3, v10
	v_sub_nc_u32_e32 v9, v9, v11
	s_delay_alu instid0(VALU_DEP_2) | instskip(NEXT) | instid1(VALU_DEP_2)
	v_and_b32_e32 v10, 0xffffff00, v10
	v_lshlrev_b32_e32 v9, 3, v9
	s_delay_alu instid0(VALU_DEP_1) | instskip(NEXT) | instid1(VALU_DEP_1)
	v_add3_u32 v8, v10, v9, v8
	v_sub_nc_u32_e32 v64, v67, v8
	s_delay_alu instid0(VALU_DEP_1)
	v_cmp_lt_i32_e32 vcc_lo, 7, v64
	s_and_b32 exec_lo, exec_lo, vcc_lo
	s_cbranch_execz .LBB6_987
; %bb.982:                              ;   in Loop: Header=BB6_871 Depth=3
	s_cbranch_execnz .LBB6_1904
; %bb.983:                              ;   in Loop: Header=BB6_871 Depth=3
	ds_load_b64 v[9:10], v0
	ds_load_b128 v[67:70], v0
	v_add_nc_u32_e32 v11, v8, v53
	s_mov_b32 s28, 0
	s_delay_alu instid0(VALU_DEP_1) | instskip(SKIP_2) | instid1(VALU_DEP_2)
	v_ashrrev_i32_e32 v71, 31, v11
	s_waitcnt lgkmcnt(1)
	v_add_co_u32 v8, vcc_lo, v9, v11
	v_add_co_ci_u32_e32 v9, vcc_lo, v10, v71, vcc_lo
	s_waitcnt lgkmcnt(0)
	v_add_co_u32 v53, vcc_lo, v67, v11
	v_add_co_ci_u32_e32 v65, vcc_lo, v68, v71, vcc_lo
	v_add_co_u32 v67, vcc_lo, v69, v11
	v_add_co_ci_u32_e32 v68, vcc_lo, v70, v71, vcc_lo
	s_set_inst_prefetch_distance 0x1
.LBB6_984:                              ;   Parent Loop BB6_51 Depth=1
                                        ;     Parent Loop BB6_869 Depth=2
                                        ;       Parent Loop BB6_871 Depth=3
                                        ; =>      This Loop Header: Depth=4
                                        ;           Child Loop BB6_985 Depth 5
	flat_load_b64 v[10:11], v[8:9] slc dlc
	s_mov_b64 s[14:15], 0
	s_mov_b32 s13, -1
.LBB6_985:                              ;   Parent Loop BB6_51 Depth=1
                                        ;     Parent Loop BB6_869 Depth=2
                                        ;       Parent Loop BB6_871 Depth=3
                                        ;         Parent Loop BB6_984 Depth=4
                                        ; =>        This Inner Loop Header: Depth=5
	s_cmp_eq_u32 s14, 0
	v_cndmask_b32_e64 v71, 0, 1, s13
	s_cselect_b32 vcc_lo, -1, 0
	s_cmp_eq_u32 s14, 1
	s_cselect_b32 s13, -1, 0
	s_delay_alu instid0(SALU_CYCLE_1) | instskip(SKIP_1) | instid1(VALU_DEP_2)
	v_cndmask_b32_e64 v69, v53, v67, s13
	v_cndmask_b32_e64 v70, v65, v68, s13
	v_add_co_u32 v131, s14, 0x100, v69
	s_delay_alu instid0(VALU_DEP_1) | instskip(SKIP_1) | instid1(VALU_DEP_3)
	v_add_co_ci_u32_e64 v132, s14, 0, v70, s14
	v_cmp_ne_u32_e64 s14, 1, v71
	v_cndmask_b32_e64 v67, v67, v131, s13
	v_cndmask_b32_e32 v53, v53, v131, vcc_lo
	s_delay_alu instid0(VALU_DEP_4)
	v_cndmask_b32_e64 v68, v68, v132, s13
	v_cndmask_b32_e32 v65, v65, v132, vcc_lo
	s_mov_b32 s13, 0
	s_and_b32 vcc_lo, exec_lo, s14
	s_mov_b64 s[14:15], 1
	s_waitcnt vmcnt(0) lgkmcnt(0)
	flat_store_b64 v[69:70], v[10:11] glc slc dlc
	s_cbranch_vccz .LBB6_985
; %bb.986:                              ;   in Loop: Header=BB6_984 Depth=4
	v_add_co_u32 v53, vcc_lo, v53, v112
	v_sub_nc_u32_e32 v64, v64, v101
	v_add_co_ci_u32_e32 v65, vcc_lo, v65, v115, vcc_lo
	v_add_co_u32 v67, vcc_lo, v67, v112
	v_add_co_ci_u32_e32 v68, vcc_lo, v68, v115, vcc_lo
	s_delay_alu instid0(VALU_DEP_4) | instskip(SKIP_1) | instid1(VALU_DEP_1)
	v_cmp_gt_i32_e32 vcc_lo, 8, v64
	v_add_co_u32 v8, s13, v116, v8
	v_add_co_ci_u32_e64 v9, s13, v117, v9, s13
	s_or_b32 s28, vcc_lo, s28
	s_delay_alu instid0(SALU_CYCLE_1)
	s_and_not1_b32 exec_lo, exec_lo, s28
	s_cbranch_execnz .LBB6_984
.LBB6_987:                              ;   in Loop: Header=BB6_871 Depth=3
	s_set_inst_prefetch_distance 0x2
	s_or_b32 exec_lo, exec_lo, s20
.LBB6_988:                              ;   in Loop: Header=BB6_871 Depth=3
	s_delay_alu instid0(SALU_CYCLE_1)
	s_or_b32 exec_lo, exec_lo, s6
	s_mov_b32 s6, 0
.LBB6_989:                              ;   in Loop: Header=BB6_871 Depth=3
	s_delay_alu instid0(SALU_CYCLE_1)
	s_and_b32 vcc_lo, exec_lo, s6
	s_cbranch_vccz .LBB6_1024
; %bb.990:                              ;   in Loop: Header=BB6_871 Depth=3
	s_mov_b32 s6, -1
	s_and_saveexec_b32 s13, vcc_hi
	s_cbranch_execz .LBB6_992
; %bb.991:                              ;   in Loop: Header=BB6_871 Depth=3
	ds_load_b32 v8, v0 offset:720
	s_waitcnt lgkmcnt(0)
	v_and_b32_e32 v8, 15, v8
	s_delay_alu instid0(VALU_DEP_1)
	v_cmp_eq_u32_e32 vcc_lo, 0, v8
	s_or_not1_b32 s6, vcc_lo, exec_lo
.LBB6_992:                              ;   in Loop: Header=BB6_871 Depth=3
	s_or_b32 exec_lo, exec_lo, s13
	s_and_saveexec_b32 s13, s5
	s_cbranch_execz .LBB6_994
; %bb.993:                              ;   in Loop: Header=BB6_871 Depth=3
	ds_load_b32 v8, v0 offset:784
	s_waitcnt lgkmcnt(0)
	v_and_b32_e32 v8, 15, v8
	s_delay_alu instid0(VALU_DEP_1) | instskip(SKIP_3) | instid1(SALU_CYCLE_1)
	v_cmp_eq_u32_e32 vcc_lo, 0, v8
	s_and_b32 s14, s6, vcc_lo
	s_and_not1_b32 s6, s6, exec_lo
	s_and_b32 s14, s14, exec_lo
	s_or_b32 s6, s6, s14
.LBB6_994:                              ;   in Loop: Header=BB6_871 Depth=3
	s_or_b32 exec_lo, exec_lo, s13
	s_xor_b32 s6, s6, -1
	v_mov_b32_e32 v53, 0
	v_cndmask_b32_e64 v8, 0, 1, s6
	;;#ASMSTART
	;;#ASMEND
	s_delay_alu instid0(VALU_DEP_1)
	v_cmp_ne_u32_e32 vcc_lo, 0, v8
	s_mov_b32 s13, -1
	s_cbranch_vccz .LBB6_996
; %bb.995:                              ;   in Loop: Header=BB6_871 Depth=3
	v_mov_b32_e32 v64, v0
	v_mov_b32_e32 v68, v84
	s_branch .LBB6_1011
.LBB6_996:                              ;   in Loop: Header=BB6_871 Depth=3
	v_ashrrev_i32_e32 v8, 31, v2
	s_mov_b32 s6, exec_lo
	s_delay_alu instid0(VALU_DEP_1) | instskip(NEXT) | instid1(VALU_DEP_1)
	v_lshrrev_b32_e32 v8, 20, v8
	v_add_nc_u32_e32 v8, v2, v8
	s_delay_alu instid0(VALU_DEP_1) | instskip(NEXT) | instid1(VALU_DEP_1)
	v_ashrrev_i32_e32 v53, 12, v8
	v_sub_nc_u32_e32 v65, v53, v84
	s_delay_alu instid0(VALU_DEP_1)
	v_cmpx_lt_i32_e32 0, v65
	s_cbranch_execz .LBB6_1001
; %bb.997:                              ;   in Loop: Header=BB6_871 Depth=3
	s_cbranch_execnz .LBB6_1888
; %bb.998:                              ;   in Loop: Header=BB6_871 Depth=3
	ds_load_b64 v[8:9], v0
	s_mov_b32 s13, 0
	s_waitcnt lgkmcnt(0)
	v_dual_mov_b32 v11, v9 :: v_dual_mov_b32 v10, v8
.LBB6_999:                              ;   Parent Loop BB6_51 Depth=1
                                        ;     Parent Loop BB6_869 Depth=2
                                        ;       Parent Loop BB6_871 Depth=3
                                        ; =>      This Inner Loop Header: Depth=4
	s_delay_alu instid0(VALU_DEP_1) | instskip(NEXT) | instid1(VALU_DEP_2)
	v_add_co_u32 v180, vcc_lo, v86, v10
	v_add_co_ci_u32_e32 v181, vcc_lo, v96, v11, vcc_lo
	v_add_co_u32 v40, vcc_lo, v86, v8
	v_add_co_ci_u32_e32 v41, vcc_lo, v96, v9, vcc_lo
	s_clause 0x7
	global_load_b128 v[67:70], v[180:181], off slc dlc
	global_load_b128 v[131:134], v[180:181], off offset:512 slc dlc
	global_load_b128 v[144:147], v[180:181], off offset:1024 slc dlc
	;; [unrolled: 1-line block ×7, first 2 shown]
	v_add_co_u32 v10, vcc_lo, v10, v98
	v_sub_nc_u32_e32 v65, v65, v83
	v_add_co_ci_u32_e32 v11, vcc_lo, v11, v99, vcc_lo
	v_add_co_u32 v8, vcc_lo, v8, v98
	v_add_co_ci_u32_e32 v9, vcc_lo, v9, v99, vcc_lo
	s_delay_alu instid0(VALU_DEP_4)
	v_cmp_gt_i32_e32 vcc_lo, 1, v65
	s_waitcnt vmcnt(7)
	global_store_b128 v[40:41], v[67:70], off glc slc dlc
	s_waitcnt vmcnt(6)
	global_store_b128 v[40:41], v[131:134], off offset:512 glc slc dlc
	s_waitcnt vmcnt(5)
	global_store_b128 v[40:41], v[144:147], off offset:1024 glc slc dlc
	;; [unrolled: 2-line block ×7, first 2 shown]
	s_or_b32 s13, vcc_lo, s13
	s_delay_alu instid0(SALU_CYCLE_1)
	s_and_not1_b32 exec_lo, exec_lo, s13
	s_cbranch_execnz .LBB6_999
; %bb.1000:                             ;   in Loop: Header=BB6_871 Depth=3
	s_or_b32 exec_lo, exec_lo, s13
.LBB6_1001:                             ;   in Loop: Header=BB6_871 Depth=3
	s_delay_alu instid0(SALU_CYCLE_1) | instskip(SKIP_3) | instid1(VALU_DEP_1)
	s_or_b32 exec_lo, exec_lo, s6
	v_dual_mov_b32 v53, 0 :: v_dual_lshlrev_b32 v10, 12, v53
	s_mov_b32 s13, 0
	s_mov_b32 s6, exec_lo
                                        ; implicit-def: $vgpr64
                                        ; implicit-def: $vgpr68
	v_cmpx_ne_u32_e64 v2, v10
	s_cbranch_execz .LBB6_1010
; %bb.1002:                             ;   in Loop: Header=BB6_871 Depth=3
	v_lshlrev_b32_e32 v8, 5, v65
	v_sub_nc_u32_e32 v53, v2, v10
	s_mov_b32 s15, exec_lo
	s_delay_alu instid0(VALU_DEP_2) | instskip(NEXT) | instid1(VALU_DEP_2)
	v_sub_nc_u32_e32 v8, v85, v8
	v_ashrrev_i32_e32 v11, 31, v53
	s_delay_alu instid0(VALU_DEP_2) | instskip(NEXT) | instid1(VALU_DEP_2)
	v_ashrrev_i32_e32 v9, 31, v8
	v_lshrrev_b32_e32 v11, 23, v11
	s_delay_alu instid0(VALU_DEP_2) | instskip(NEXT) | instid1(VALU_DEP_2)
	v_lshrrev_b32_e32 v9, 27, v9
	v_add_nc_u32_e32 v68, v53, v11
	s_delay_alu instid0(VALU_DEP_2) | instskip(NEXT) | instid1(VALU_DEP_2)
	v_add_nc_u32_e32 v9, v8, v9
	v_and_b32_e32 v11, 0xfffffe00, v68
	v_ashrrev_i32_e32 v68, 9, v68
	s_delay_alu instid0(VALU_DEP_3) | instskip(NEXT) | instid1(VALU_DEP_3)
	v_and_b32_e32 v64, 0xffffffe0, v9
	v_sub_nc_u32_e32 v67, v53, v11
	s_delay_alu instid0(VALU_DEP_2) | instskip(SKIP_1) | instid1(VALU_DEP_3)
	v_sub_nc_u32_e32 v65, v8, v64
	v_ashrrev_i32_e32 v8, 5, v9
	v_cmp_lt_i32_e32 vcc_lo, 15, v67
	s_delay_alu instid0(VALU_DEP_3) | instskip(NEXT) | instid1(VALU_DEP_1)
	v_lshlrev_b32_e32 v9, 4, v65
	v_lshl_add_u32 v64, v8, 9, v9
	v_add_co_ci_u32_e64 v9, s13, 0, v68, vcc_lo
	s_delay_alu instid0(VALU_DEP_2) | instskip(NEXT) | instid1(VALU_DEP_2)
	v_sub_nc_u32_e32 v53, v53, v64
	v_sub_nc_u32_e32 v69, v9, v8
	s_delay_alu instid0(VALU_DEP_2)
	v_cmpx_lt_i32_e32 15, v53
	s_cbranch_execz .LBB6_1007
; %bb.1003:                             ;   in Loop: Header=BB6_871 Depth=3
	s_cbranch_execnz .LBB6_1918
; %bb.1004:                             ;   in Loop: Header=BB6_871 Depth=3
	ds_load_b64 v[8:9], v0
	v_add_nc_u32_e32 v64, v64, v10
	s_mov_b32 s20, 0
	s_delay_alu instid0(VALU_DEP_1)
	v_ashrrev_i32_e32 v68, 31, v64
.LBB6_1005:                             ;   Parent Loop BB6_51 Depth=1
                                        ;     Parent Loop BB6_869 Depth=2
                                        ;       Parent Loop BB6_871 Depth=3
                                        ; =>      This Inner Loop Header: Depth=4
	s_waitcnt lgkmcnt(0)
	v_add_co_u32 v70, s13, v8, v64
	s_delay_alu instid0(VALU_DEP_1)
	v_add_co_ci_u32_e64 v71, s13, v9, v68, s13
	v_sub_nc_u32_e32 v53, v53, v87
	v_add_co_u32 v64, s14, v64, v102
	global_load_b128 v[131:134], v[70:71], off slc dlc
	v_sub_nc_u32_e32 v69, v69, v83
	v_cmp_gt_i32_e64 s13, 16, v53
	v_add_co_ci_u32_e64 v68, s14, v68, v103, s14
	s_delay_alu instid0(VALU_DEP_2)
	s_or_b32 s20, s13, s20
	s_waitcnt vmcnt(0)
	global_store_b128 v[70:71], v[131:134], off glc slc dlc
	s_and_not1_b32 exec_lo, exec_lo, s20
	s_cbranch_execnz .LBB6_1005
; %bb.1006:                             ;   in Loop: Header=BB6_871 Depth=3
	s_or_b32 exec_lo, exec_lo, s20
.LBB6_1007:                             ;   in Loop: Header=BB6_871 Depth=3
	s_delay_alu instid0(SALU_CYCLE_1) | instskip(SKIP_3) | instid1(VALU_DEP_1)
	s_or_b32 exec_lo, exec_lo, s15
	v_dual_mov_b32 v53, 0 :: v_dual_and_b32 v8, 8, v2
	s_mov_b32 s14, 0
	s_mov_b32 s15, exec_lo
                                        ; implicit-def: $vgpr64
                                        ; implicit-def: $vgpr68
	v_cndmask_b32_e32 v2, v67, v8, vcc_lo
	s_delay_alu instid0(VALU_DEP_1)
	v_cmpx_ne_u32_e32 0, v2
; %bb.1008:                             ;   in Loop: Header=BB6_871 Depth=3
	v_cmp_lt_i32_e64 s13, 0, v69
	v_sub_nc_u32_e32 v8, v67, v8
	s_mov_b32 s14, exec_lo
	s_delay_alu instid0(VALU_DEP_2) | instskip(NEXT) | instid1(VALU_DEP_1)
	v_cndmask_b32_e64 v9, 0, v83, s13
	v_sub_nc_u32_e32 v9, v9, v69
	s_delay_alu instid0(VALU_DEP_1) | instskip(NEXT) | instid1(VALU_DEP_1)
	v_lshl_add_u32 v64, v9, 5, v65
	v_ashrrev_i32_e32 v9, 31, v64
	s_delay_alu instid0(VALU_DEP_1) | instskip(NEXT) | instid1(VALU_DEP_1)
	v_lshrrev_b32_e32 v9, 27, v9
	v_dual_cndmask_b32 v8, 0, v8 :: v_dual_add_nc_u32 v9, v64, v9
	s_delay_alu instid0(VALU_DEP_1) | instskip(NEXT) | instid1(VALU_DEP_2)
	v_add3_u32 v53, v11, v10, v8
	v_ashrrev_i32_e32 v68, 5, v9
; %bb.1009:                             ;   in Loop: Header=BB6_871 Depth=3
	s_or_b32 exec_lo, exec_lo, s15
	s_delay_alu instid0(SALU_CYCLE_1)
	s_and_b32 s13, s14, exec_lo
.LBB6_1010:                             ;   in Loop: Header=BB6_871 Depth=3
	s_or_b32 exec_lo, exec_lo, s6
.LBB6_1011:                             ;   in Loop: Header=BB6_871 Depth=3
	s_and_saveexec_b32 s6, s13
	s_cbranch_execz .LBB6_1023
; %bb.1012:                             ;   in Loop: Header=BB6_871 Depth=3
	v_ashrrev_i32_e32 v8, 31, v2
	s_mov_b32 s14, exec_lo
	s_delay_alu instid0(VALU_DEP_1) | instskip(NEXT) | instid1(VALU_DEP_1)
	v_lshrrev_b32_e32 v8, 22, v8
	v_add_nc_u32_e32 v8, v2, v8
	s_delay_alu instid0(VALU_DEP_1) | instskip(NEXT) | instid1(VALU_DEP_1)
	v_ashrrev_i32_e32 v67, 10, v8
	v_sub_nc_u32_e32 v65, v67, v68
	s_delay_alu instid0(VALU_DEP_1)
	v_cmpx_lt_i32_e32 0, v65
	s_cbranch_execz .LBB6_1017
; %bb.1013:                             ;   in Loop: Header=BB6_871 Depth=3
	s_cbranch_execnz .LBB6_1876
; %bb.1014:                             ;   in Loop: Header=BB6_871 Depth=3
	v_ashrrev_i32_e32 v8, 31, v64
	s_mov_b32 s15, 0
	s_delay_alu instid0(VALU_DEP_1) | instskip(NEXT) | instid1(VALU_DEP_1)
	v_lshrrev_b32_e32 v8, 27, v8
	v_add_nc_u32_e32 v8, v64, v8
	s_delay_alu instid0(VALU_DEP_1) | instskip(SKIP_3) | instid1(VALU_DEP_1)
	v_and_b32_e32 v10, 0x1fffffe0, v8
	ds_load_b64 v[8:9], v0
	v_lshlrev_b32_e32 v11, 10, v68
	v_sub_nc_u32_e32 v10, v64, v10
	v_lshlrev_b32_e32 v10, 3, v10
	s_delay_alu instid0(VALU_DEP_1) | instskip(NEXT) | instid1(VALU_DEP_1)
	v_add3_u32 v68, v10, v53, v11
	v_ashrrev_i32_e32 v69, 31, v68
	s_waitcnt lgkmcnt(0)
	v_dual_mov_b32 v11, v9 :: v_dual_mov_b32 v10, v8
	s_set_inst_prefetch_distance 0x1
.LBB6_1015:                             ;   Parent Loop BB6_51 Depth=1
                                        ;     Parent Loop BB6_869 Depth=2
                                        ;       Parent Loop BB6_871 Depth=3
                                        ; =>      This Inner Loop Header: Depth=4
	s_delay_alu instid0(VALU_DEP_1) | instskip(NEXT) | instid1(VALU_DEP_2)
	v_add_co_u32 v70, vcc_lo, v68, v10
	v_add_co_ci_u32_e32 v71, vcc_lo, v69, v11, vcc_lo
	v_add_co_u32 v146, vcc_lo, v68, v8
	v_sub_nc_u32_e32 v65, v65, v83
	s_clause 0x3
	flat_load_b64 v[131:132], v[70:71] slc dlc
	flat_load_b64 v[133:134], v[70:71] offset:256 slc dlc
	flat_load_b64 v[144:145], v[70:71] offset:512 slc dlc
	;; [unrolled: 1-line block ×3, first 2 shown]
	v_add_co_ci_u32_e32 v147, vcc_lo, v69, v9, vcc_lo
	v_add_co_u32 v10, vcc_lo, v10, v113
	v_add_co_ci_u32_e32 v11, vcc_lo, v11, v114, vcc_lo
	v_add_co_u32 v8, vcc_lo, v8, v113
	v_cmp_gt_i32_e64 s13, 1, v65
	v_add_co_ci_u32_e32 v9, vcc_lo, v9, v114, vcc_lo
	s_waitcnt vmcnt(3) lgkmcnt(3)
	flat_store_b64 v[146:147], v[131:132] glc slc dlc
	s_waitcnt vmcnt(2) lgkmcnt(3)
	flat_store_b64 v[146:147], v[133:134] offset:256 glc slc dlc
	s_waitcnt vmcnt(1) lgkmcnt(3)
	flat_store_b64 v[146:147], v[144:145] offset:512 glc slc dlc
	;; [unrolled: 2-line block ×3, first 2 shown]
	s_or_b32 s15, s13, s15
	s_delay_alu instid0(SALU_CYCLE_1)
	s_and_not1_b32 exec_lo, exec_lo, s15
	s_cbranch_execnz .LBB6_1015
; %bb.1016:                             ;   in Loop: Header=BB6_871 Depth=3
	s_set_inst_prefetch_distance 0x2
	s_or_b32 exec_lo, exec_lo, s15
.LBB6_1017:                             ;   in Loop: Header=BB6_871 Depth=3
	s_delay_alu instid0(SALU_CYCLE_1) | instskip(SKIP_2) | instid1(VALU_DEP_1)
	s_or_b32 exec_lo, exec_lo, s14
	v_lshlrev_b32_e32 v8, 10, v67
	s_mov_b32 s14, exec_lo
	v_cmpx_ne_u32_e64 v2, v8
	s_cbranch_execz .LBB6_1022
; %bb.1018:                             ;   in Loop: Header=BB6_871 Depth=3
	v_ashrrev_i32_e32 v9, 31, v64
	v_lshlrev_b32_e32 v10, 5, v65
	s_delay_alu instid0(VALU_DEP_2) | instskip(NEXT) | instid1(VALU_DEP_1)
	v_lshrrev_b32_e32 v9, 27, v9
	v_add_nc_u32_e32 v9, v64, v9
	s_delay_alu instid0(VALU_DEP_1) | instskip(NEXT) | instid1(VALU_DEP_1)
	v_and_b32_e32 v9, 0xffffffe0, v9
	v_sub_nc_u32_e32 v9, v64, v9
	s_delay_alu instid0(VALU_DEP_1) | instskip(NEXT) | instid1(VALU_DEP_1)
	v_sub_nc_u32_e32 v9, v9, v10
	v_ashrrev_i32_e32 v10, 31, v9
	s_delay_alu instid0(VALU_DEP_1) | instskip(NEXT) | instid1(VALU_DEP_1)
	v_lshrrev_b32_e32 v10, 27, v10
	v_add_nc_u32_e32 v10, v9, v10
	s_delay_alu instid0(VALU_DEP_1) | instskip(SKIP_1) | instid1(VALU_DEP_2)
	v_and_b32_e32 v11, 0x1fffffe0, v10
	v_lshlrev_b32_e32 v10, 3, v10
	v_sub_nc_u32_e32 v9, v9, v11
	s_delay_alu instid0(VALU_DEP_2) | instskip(NEXT) | instid1(VALU_DEP_2)
	v_and_b32_e32 v10, 0xffffff00, v10
	v_lshlrev_b32_e32 v9, 3, v9
	s_delay_alu instid0(VALU_DEP_1) | instskip(NEXT) | instid1(VALU_DEP_1)
	v_add3_u32 v10, v10, v9, v8
	v_sub_nc_u32_e32 v2, v2, v10
	s_delay_alu instid0(VALU_DEP_1)
	v_cmp_lt_i32_e32 vcc_lo, 7, v2
	s_and_b32 exec_lo, exec_lo, vcc_lo
	s_cbranch_execz .LBB6_1022
; %bb.1019:                             ;   in Loop: Header=BB6_871 Depth=3
	s_cbranch_execnz .LBB6_1914
; %bb.1020:                             ;   in Loop: Header=BB6_871 Depth=3
	ds_load_b64 v[8:9], v0
	v_add_nc_u32_e32 v10, v10, v53
	s_mov_b32 s15, 0
	s_delay_alu instid0(VALU_DEP_1)
	v_ashrrev_i32_e32 v11, 31, v10
.LBB6_1021:                             ;   Parent Loop BB6_51 Depth=1
                                        ;     Parent Loop BB6_869 Depth=2
                                        ;       Parent Loop BB6_871 Depth=3
                                        ; =>      This Inner Loop Header: Depth=4
	s_waitcnt lgkmcnt(0)
	v_add_co_u32 v64, vcc_lo, v8, v10
	s_delay_alu instid0(VALU_DEP_2)
	v_add_co_ci_u32_e32 v65, vcc_lo, v9, v11, vcc_lo
	v_sub_nc_u32_e32 v2, v2, v101
	v_add_co_u32 v10, s13, v10, v116
	flat_load_b64 v[67:68], v[64:65] slc dlc
	v_add_co_ci_u32_e64 v11, s13, v11, v117, s13
	v_cmp_gt_i32_e32 vcc_lo, 8, v2
	s_or_b32 s15, vcc_lo, s15
	s_waitcnt vmcnt(0) lgkmcnt(0)
	flat_store_b64 v[64:65], v[67:68] glc slc dlc
	s_and_not1_b32 exec_lo, exec_lo, s15
	s_cbranch_execnz .LBB6_1021
.LBB6_1022:                             ;   in Loop: Header=BB6_871 Depth=3
	s_or_b32 exec_lo, exec_lo, s14
.LBB6_1023:                             ;   in Loop: Header=BB6_871 Depth=3
	s_delay_alu instid0(SALU_CYCLE_1)
	s_or_b32 exec_lo, exec_lo, s6
.LBB6_1024:                             ;   in Loop: Header=BB6_871 Depth=3
	s_and_saveexec_b32 s6, s3
	s_cbranch_execz .LBB6_1046
; %bb.1025:                             ;   in Loop: Header=BB6_871 Depth=3
	s_and_saveexec_b32 s13, s4
	s_delay_alu instid0(SALU_CYCLE_1)
	s_xor_b32 s13, exec_lo, s13
	s_cbranch_execz .LBB6_1043
; %bb.1026:                             ;   in Loop: Header=BB6_871 Depth=3
	s_and_saveexec_b32 s14, s1
	s_cbranch_execz .LBB6_1042
; %bb.1027:                             ;   in Loop: Header=BB6_871 Depth=3
	s_mov_b32 s20, exec_lo
	s_mov_b32 s15, exec_lo
	v_mbcnt_lo_u32_b32 v2, s20, 0
	s_waitcnt lgkmcnt(0)
	s_waitcnt_vscnt null, 0x0
	buffer_gl1_inv
	buffer_gl0_inv
	v_cmpx_eq_u32_e32 0, v2
	s_cbranch_execz .LBB6_1029
; %bb.1028:                             ;   in Loop: Header=BB6_871 Depth=3
	s_bcnt1_i32_b32 s20, s20
	s_delay_alu instid0(SALU_CYCLE_1)
	v_mov_b32_e32 v2, s20
	ds_add_u64 v0, v[2:3]
	s_cbranch_execnz .LBB6_1862
.LBB6_1029:                             ;   in Loop: Header=BB6_871 Depth=3
	s_or_b32 exec_lo, exec_lo, s15
	s_cbranch_execnz .LBB6_1840
; %bb.1030:                             ;   in Loop: Header=BB6_871 Depth=3
	ds_load_b64 v[8:9], v0
	v_add_co_u32 v12, vcc_lo, v12, v83
	v_add_co_ci_u32_e32 v13, vcc_lo, 0, v13, vcc_lo
	s_mov_b32 s15, exec_lo
	s_waitcnt lgkmcnt(0)
	s_delay_alu instid0(VALU_DEP_1)
	v_cmpx_lt_u64_e64 v[8:9], v[12:13]
	s_cbranch_execz .LBB6_1041
; %bb.1031:                             ;   in Loop: Header=BB6_871 Depth=3
	s_mov_b32 s20, 0
	s_mov_b32 s37, 0
                                        ; implicit-def: $sgpr28
                                        ; implicit-def: $sgpr36
	s_branch .LBB6_1033
.LBB6_1032:                             ;   in Loop: Header=BB6_1033 Depth=4
	s_or_b32 exec_lo, exec_lo, s39
	s_delay_alu instid0(SALU_CYCLE_1) | instskip(NEXT) | instid1(SALU_CYCLE_1)
	s_and_b32 vcc_lo, exec_lo, vcc_lo
	s_or_b32 s20, vcc_lo, s20
	s_and_not1_b32 s28, s28, exec_lo
	s_and_b32 vcc_lo, s36, exec_lo
	s_delay_alu instid0(SALU_CYCLE_1)
	s_or_b32 s28, s28, vcc_lo
	s_and_not1_b32 exec_lo, exec_lo, s20
	s_cbranch_execz .LBB6_1039
.LBB6_1033:                             ;   Parent Loop BB6_51 Depth=1
                                        ;     Parent Loop BB6_869 Depth=2
                                        ;       Parent Loop BB6_871 Depth=3
                                        ; =>      This Inner Loop Header: Depth=4
	s_add_i32 s37, s37, 1
                                        ; implicit-def: $sgpr39
	s_delay_alu instid0(SALU_CYCLE_1) | instskip(SKIP_1) | instid1(SALU_CYCLE_1)
	s_cmpk_lg_i32 s37, 0x2710
	s_cselect_b32 s38, -1, 0
	s_and_b32 vcc_lo, exec_lo, s38
	s_cbranch_vccnz .LBB6_1036
; %bb.1034:                             ;   in Loop: Header=BB6_1033 Depth=4
	s_cbranch_execnz .LBB6_1902
; %bb.1035:                             ;   in Loop: Header=BB6_1033 Depth=4
	ds_load_b64 v[8:9], v0
	s_and_not1_b32 s38, s38, exec_lo
	s_mov_b32 s37, 0
	s_mov_b32 s39, -1
	s_waitcnt lgkmcnt(0)
	flat_load_b32 v2, v[8:9] glc
	s_waitcnt vmcnt(0) lgkmcnt(0)
	buffer_gl1_inv
	buffer_gl0_inv
	v_cmp_eq_u32_e32 vcc_lo, 0, v2
	s_and_b32 vcc_lo, vcc_lo, exec_lo
	s_delay_alu instid0(SALU_CYCLE_1)
	s_or_b32 s38, s38, vcc_lo
.LBB6_1036:                             ;   in Loop: Header=BB6_1033 Depth=4
	s_and_not1_b32 s36, s36, exec_lo
	s_and_b32 s39, s39, exec_lo
	s_mov_b32 vcc_lo, -1
	s_or_b32 s36, s36, s39
	s_and_saveexec_b32 s39, s38
	s_cbranch_execz .LBB6_1032
; %bb.1037:                             ;   in Loop: Header=BB6_1033 Depth=4
	s_sleep 1
	s_cbranch_execnz .LBB6_1894
; %bb.1038:                             ;   in Loop: Header=BB6_1033 Depth=4
	ds_load_b64 v[8:9], v0
	s_and_not1_b32 s36, s36, exec_lo
	s_waitcnt lgkmcnt(0)
	v_cmp_ge_u64_e32 vcc_lo, v[8:9], v[12:13]
	s_or_not1_b32 vcc_lo, vcc_lo, exec_lo
	s_branch .LBB6_1032
.LBB6_1039:                             ;   in Loop: Header=BB6_871 Depth=3
	s_or_b32 exec_lo, exec_lo, s20
	s_and_saveexec_b32 s20, s28
	s_delay_alu instid0(SALU_CYCLE_1)
	s_xor_b32 s20, exec_lo, s20
	s_cbranch_execz .LBB6_1041
; %bb.1040:                             ;   in Loop: Header=BB6_871 Depth=3
	ds_store_b32 v0, v130
	s_cbranch_execnz .LBB6_1948
.LBB6_1041:                             ;   in Loop: Header=BB6_871 Depth=3
	s_or_b32 exec_lo, exec_lo, s15
	;;#ASMSTART
	s_wakeup
	;;#ASMEND
.LBB6_1042:                             ;   in Loop: Header=BB6_871 Depth=3
	s_or_b32 exec_lo, exec_lo, s14
.LBB6_1043:                             ;   in Loop: Header=BB6_871 Depth=3
	s_and_not1_saveexec_b32 s13, s13
	s_cbranch_execz .LBB6_1045
; %bb.1044:                             ;   in Loop: Header=BB6_871 Depth=3
	s_waitcnt lgkmcnt(0)
	s_waitcnt_vscnt null, 0x0
	buffer_gl1_inv
	buffer_gl0_inv
	s_barrier
.LBB6_1045:                             ;   in Loop: Header=BB6_871 Depth=3
	s_or_b32 exec_lo, exec_lo, s13
.LBB6_1046:                             ;   in Loop: Header=BB6_871 Depth=3
	s_delay_alu instid0(SALU_CYCLE_1) | instskip(SKIP_1) | instid1(SALU_CYCLE_1)
	s_or_b32 exec_lo, exec_lo, s6
                                        ; implicit-def: $vgpr2
	s_and_saveexec_b32 s6, s7
	s_xor_b32 s6, exec_lo, s6
	s_cbranch_execz .LBB6_1050
; %bb.1047:                             ;   in Loop: Header=BB6_871 Depth=3
	v_and_b32_e32 v2, 16, v30
	v_cmp_lt_i32_e32 vcc_lo, 0, v51
	s_delay_alu instid0(VALU_DEP_2) | instskip(SKIP_1) | instid1(VALU_DEP_2)
	v_cmp_ne_u32_e64 s13, 0, v2
	v_and_b32_e32 v2, 16, v30
	s_and_b32 s14, s13, vcc_lo
	s_delay_alu instid0(SALU_CYCLE_1)
	s_and_saveexec_b32 s13, s14
	s_cbranch_execz .LBB6_1049
; %bb.1048:                             ;   in Loop: Header=BB6_871 Depth=3
	v_mov_b32_e32 v2, 1
	s_waitcnt lgkmcnt(0)
	s_waitcnt_vscnt null, 0x0
	buffer_gl1_inv
	buffer_gl0_inv
.LBB6_1049:                             ;   in Loop: Header=BB6_871 Depth=3
	s_or_b32 exec_lo, exec_lo, s13
.LBB6_1050:                             ;   in Loop: Header=BB6_871 Depth=3
	s_and_not1_saveexec_b32 s6, s6
	s_cbranch_execz .LBB6_1072
; %bb.1051:                             ;   in Loop: Header=BB6_871 Depth=3
	s_and_saveexec_b32 s13, s4
	s_delay_alu instid0(SALU_CYCLE_1)
	s_xor_b32 s13, exec_lo, s13
	s_cbranch_execz .LBB6_1069
; %bb.1052:                             ;   in Loop: Header=BB6_871 Depth=3
	s_and_saveexec_b32 s14, s1
	s_cbranch_execz .LBB6_1068
; %bb.1053:                             ;   in Loop: Header=BB6_871 Depth=3
	s_mov_b32 s20, exec_lo
	s_mov_b32 s15, exec_lo
	v_mbcnt_lo_u32_b32 v2, s20, 0
	;;#ASMSTART
	s_waitcnt lgkmcnt(0) vmcnt(0)
	;;#ASMEND
	s_delay_alu instid0(VALU_DEP_1)
	v_cmpx_eq_u32_e32 0, v2
	s_cbranch_execz .LBB6_1055
; %bb.1054:                             ;   in Loop: Header=BB6_871 Depth=3
	s_bcnt1_i32_b32 s20, s20
	s_delay_alu instid0(SALU_CYCLE_1)
	v_mov_b32_e32 v2, s20
	ds_add_u64 v0, v[2:3]
	s_cbranch_execnz .LBB6_1864
.LBB6_1055:                             ;   in Loop: Header=BB6_871 Depth=3
	s_or_b32 exec_lo, exec_lo, s15
	s_cbranch_execnz .LBB6_1844
; %bb.1056:                             ;   in Loop: Header=BB6_871 Depth=3
	ds_load_b64 v[8:9], v0
	v_add_co_u32 v12, vcc_lo, v12, v83
	v_add_co_ci_u32_e32 v13, vcc_lo, 0, v13, vcc_lo
	s_mov_b32 s15, exec_lo
	s_waitcnt lgkmcnt(0)
	s_delay_alu instid0(VALU_DEP_1)
	v_cmpx_lt_u64_e64 v[8:9], v[12:13]
	s_cbranch_execz .LBB6_1067
; %bb.1057:                             ;   in Loop: Header=BB6_871 Depth=3
	s_mov_b32 s20, 0
	s_mov_b32 s37, 0
                                        ; implicit-def: $sgpr28
                                        ; implicit-def: $sgpr36
	s_branch .LBB6_1059
.LBB6_1058:                             ;   in Loop: Header=BB6_1059 Depth=4
	s_or_b32 exec_lo, exec_lo, s39
	s_delay_alu instid0(SALU_CYCLE_1) | instskip(NEXT) | instid1(SALU_CYCLE_1)
	s_and_b32 vcc_lo, exec_lo, vcc_lo
	s_or_b32 s20, vcc_lo, s20
	s_and_not1_b32 s28, s28, exec_lo
	s_and_b32 vcc_lo, s36, exec_lo
	s_delay_alu instid0(SALU_CYCLE_1)
	s_or_b32 s28, s28, vcc_lo
	s_and_not1_b32 exec_lo, exec_lo, s20
	s_cbranch_execz .LBB6_1065
.LBB6_1059:                             ;   Parent Loop BB6_51 Depth=1
                                        ;     Parent Loop BB6_869 Depth=2
                                        ;       Parent Loop BB6_871 Depth=3
                                        ; =>      This Inner Loop Header: Depth=4
	s_add_i32 s37, s37, 1
                                        ; implicit-def: $sgpr39
	s_delay_alu instid0(SALU_CYCLE_1) | instskip(SKIP_1) | instid1(SALU_CYCLE_1)
	s_cmpk_lg_i32 s37, 0x2710
	s_cselect_b32 s38, -1, 0
	s_and_b32 vcc_lo, exec_lo, s38
	s_cbranch_vccnz .LBB6_1062
; %bb.1060:                             ;   in Loop: Header=BB6_1059 Depth=4
	s_cbranch_execnz .LBB6_1906
; %bb.1061:                             ;   in Loop: Header=BB6_1059 Depth=4
	ds_load_b64 v[8:9], v0
	s_and_not1_b32 s38, s38, exec_lo
	s_mov_b32 s37, 0
	s_mov_b32 s39, -1
	s_waitcnt lgkmcnt(0)
	s_waitcnt_vscnt null, 0x0
	flat_load_b32 v2, v[8:9] glc
	s_waitcnt vmcnt(0) lgkmcnt(0)
	buffer_gl1_inv
	buffer_gl0_inv
	v_cmp_eq_u32_e32 vcc_lo, 0, v2
	s_and_b32 vcc_lo, vcc_lo, exec_lo
	s_delay_alu instid0(SALU_CYCLE_1)
	s_or_b32 s38, s38, vcc_lo
.LBB6_1062:                             ;   in Loop: Header=BB6_1059 Depth=4
	s_and_not1_b32 s36, s36, exec_lo
	s_and_b32 s39, s39, exec_lo
	s_mov_b32 vcc_lo, -1
	s_or_b32 s36, s36, s39
	s_and_saveexec_b32 s39, s38
	s_cbranch_execz .LBB6_1058
; %bb.1063:                             ;   in Loop: Header=BB6_1059 Depth=4
	s_sleep 1
	s_cbranch_execnz .LBB6_1900
; %bb.1064:                             ;   in Loop: Header=BB6_1059 Depth=4
	ds_load_b64 v[8:9], v0
	s_and_not1_b32 s36, s36, exec_lo
	s_waitcnt lgkmcnt(0)
	v_cmp_ge_u64_e32 vcc_lo, v[8:9], v[12:13]
	s_or_not1_b32 vcc_lo, vcc_lo, exec_lo
	s_branch .LBB6_1058
.LBB6_1065:                             ;   in Loop: Header=BB6_871 Depth=3
	s_or_b32 exec_lo, exec_lo, s20
	s_and_saveexec_b32 s20, s28
	s_delay_alu instid0(SALU_CYCLE_1)
	s_xor_b32 s20, exec_lo, s20
	s_cbranch_execz .LBB6_1067
; %bb.1066:                             ;   in Loop: Header=BB6_871 Depth=3
	ds_store_b32 v0, v130
	s_cbranch_execnz .LBB6_1950
.LBB6_1067:                             ;   in Loop: Header=BB6_871 Depth=3
	s_or_b32 exec_lo, exec_lo, s15
	;;#ASMSTART
	s_wakeup
	;;#ASMEND
.LBB6_1068:                             ;   in Loop: Header=BB6_871 Depth=3
	s_or_b32 exec_lo, exec_lo, s14
.LBB6_1069:                             ;   in Loop: Header=BB6_871 Depth=3
	s_and_not1_saveexec_b32 s13, s13
	s_cbranch_execz .LBB6_1071
; %bb.1070:                             ;   in Loop: Header=BB6_871 Depth=3
	;;#ASMSTART
	s_waitcnt lgkmcnt(0) vmcnt(0)
	;;#ASMEND
	s_waitcnt lgkmcnt(0)
	s_waitcnt_vscnt null, 0x0
	s_barrier
.LBB6_1071:                             ;   in Loop: Header=BB6_871 Depth=3
	s_or_b32 exec_lo, exec_lo, s13
	v_and_b32_e32 v2, 16, v30
.LBB6_1072:                             ;   in Loop: Header=BB6_871 Depth=3
	s_or_b32 exec_lo, exec_lo, s6
	s_delay_alu instid0(VALU_DEP_1) | instskip(SKIP_1) | instid1(SALU_CYCLE_1)
	v_cmp_ne_u32_e32 vcc_lo, 0, v2
	s_xor_b32 s6, s10, -1
	s_and_b32 s13, vcc_lo, s6
	s_delay_alu instid0(SALU_CYCLE_1)
	s_and_saveexec_b32 s6, s13
	s_cbranch_execz .LBB6_1074
; %bb.1073:                             ;   in Loop: Header=BB6_871 Depth=3
	s_waitcnt lgkmcnt(0)
	s_waitcnt_vscnt null, 0x0
	flat_store_b32 v[26:27], v130
.LBB6_1074:                             ;   in Loop: Header=BB6_871 Depth=3
	s_or_b32 exec_lo, exec_lo, s6
	v_and_b32_e32 v2, 48, v30
	s_mov_b32 s6, exec_lo
	s_delay_alu instid0(VALU_DEP_1)
	v_cmpx_ne_u32_e32 0, v2
	s_cbranch_execz .LBB6_1076
; %bb.1075:                             ;   in Loop: Header=BB6_871 Depth=3
	v_add_co_u32 v22, vcc_lo, v22, 2
	v_add_co_ci_u32_e32 v23, vcc_lo, 0, v23, vcc_lo
	s_waitcnt lgkmcnt(0)
	s_waitcnt_vscnt null, 0x0
	flat_store_b64 v[20:21], v[22:23]
.LBB6_1076:                             ;   in Loop: Header=BB6_871 Depth=3
	s_or_b32 exec_lo, exec_lo, s6
	v_add_nc_u32_e32 v52, v50, v52
	s_xor_b32 s6, s34, -1
	v_mov_b32_e32 v2, s35
	s_mov_b32 s34, 0
	s_mov_b32 s35, 2
	v_cmp_ge_i32_e32 vcc_lo, v52, v66
	s_or_b32 s6, s6, vcc_lo
	s_delay_alu instid0(SALU_CYCLE_1) | instskip(NEXT) | instid1(SALU_CYCLE_1)
	s_and_b32 s6, exec_lo, s6
	s_or_b32 s31, s6, s31
	s_delay_alu instid0(SALU_CYCLE_1)
	s_and_not1_b32 exec_lo, exec_lo, s31
	s_cbranch_execnz .LBB6_871
; %bb.1077:                             ;   in Loop: Header=BB6_869 Depth=2
	s_or_b32 exec_lo, exec_lo, s31
.LBB6_1078:                             ;   in Loop: Header=BB6_869 Depth=2
	s_delay_alu instid0(SALU_CYCLE_1) | instskip(NEXT) | instid1(SALU_CYCLE_1)
	s_or_b32 exec_lo, exec_lo, s30
	s_mov_b32 s14, exec_lo
	v_cmpx_gt_i32_e32 2, v2
	s_cbranch_execz .LBB6_1162
; %bb.1079:                             ;   in Loop: Header=BB6_869 Depth=2
	v_cmp_eq_u32_e64 s6, 0, v2
	s_mov_b32 s15, 0
.LBB6_1080:                             ;   Parent Loop BB6_51 Depth=1
                                        ;     Parent Loop BB6_869 Depth=2
                                        ; =>    This Loop Header: Depth=3
                                        ;         Child Loop BB6_1086 Depth 4
                                        ;         Child Loop BB6_1116 Depth 4
	;; [unrolled: 1-line block ×3, first 2 shown]
	v_and_b32_e32 v2, 12, v30
	s_mov_b32 s20, -1
	s_mov_b32 s13, exec_lo
	s_delay_alu instid0(VALU_DEP_1)
	v_cmpx_ne_u32_e32 0, v2
	s_cbranch_execz .LBB6_1094
; %bb.1081:                             ;   in Loop: Header=BB6_1080 Depth=3
	v_and_b32_e32 v2, 8, v30
	s_delay_alu instid0(VALU_DEP_1) | instskip(SKIP_3) | instid1(VALU_DEP_1)
	v_add_co_u32 v10, vcc_lo, v28, v2
	v_add_co_ci_u32_e32 v11, vcc_lo, 0, v29, vcc_lo
	v_add_co_u32 v8, vcc_lo, v22, 2
	v_add_co_ci_u32_e32 v9, vcc_lo, 0, v23, vcc_lo
	v_cmp_lt_u64_e32 vcc_lo, v[10:11], v[8:9]
	v_mov_b32_e32 v10, 1
	s_and_saveexec_b32 s20, vcc_lo
	s_cbranch_execz .LBB6_1093
; %bb.1082:                             ;   in Loop: Header=BB6_1080 Depth=3
	v_mov_b32_e32 v10, 0
	s_mov_b32 s28, 0
                                        ; implicit-def: $sgpr30
	s_branch .LBB6_1086
.LBB6_1083:                             ;   in Loop: Header=BB6_1086 Depth=4
	s_or_b32 exec_lo, exec_lo, s36
	v_mov_b32_e32 v11, 0
	s_or_not1_b32 s35, s35, exec_lo
.LBB6_1084:                             ;   in Loop: Header=BB6_1086 Depth=4
	s_or_b32 exec_lo, exec_lo, s34
	s_delay_alu instid0(VALU_DEP_1) | instskip(SKIP_2) | instid1(SALU_CYCLE_1)
	v_mov_b32_e32 v10, v11
	s_and_not1_b32 vcc_lo, s30, exec_lo
	s_and_b32 s30, s35, exec_lo
	s_or_b32 s30, vcc_lo, s30
.LBB6_1085:                             ;   in Loop: Header=BB6_1086 Depth=4
	s_or_b32 exec_lo, exec_lo, s31
	s_waitcnt vmcnt(0) lgkmcnt(0)
	v_add_co_u32 v53, vcc_lo, v28, v2
	v_add_co_ci_u32_e32 v54, vcc_lo, 0, v29, vcc_lo
	s_xor_b32 s31, s30, -1
	s_delay_alu instid0(VALU_DEP_1) | instskip(SKIP_1) | instid1(SALU_CYCLE_1)
	v_cmp_ge_u64_e32 vcc_lo, v[53:54], v[8:9]
	s_or_b32 vcc_lo, s31, vcc_lo
	s_and_b32 vcc_lo, exec_lo, vcc_lo
	s_delay_alu instid0(SALU_CYCLE_1) | instskip(NEXT) | instid1(SALU_CYCLE_1)
	s_or_b32 s28, vcc_lo, s28
	s_and_not1_b32 exec_lo, exec_lo, s28
	s_cbranch_execz .LBB6_1092
.LBB6_1086:                             ;   Parent Loop BB6_51 Depth=1
                                        ;     Parent Loop BB6_869 Depth=2
                                        ;       Parent Loop BB6_1080 Depth=3
                                        ; =>      This Inner Loop Header: Depth=4
	s_sleep 1
	flat_load_b64 v[28:29], v[20:21] glc
	v_and_b32_e32 v11, 64, v30
	s_and_not1_b32 s30, s30, exec_lo
	s_mov_b32 s31, exec_lo
	s_delay_alu instid0(VALU_DEP_1)
	v_cmpx_eq_u32_e32 0, v11
	s_cbranch_execz .LBB6_1085
; %bb.1087:                             ;   in Loop: Header=BB6_1086 Depth=4
	v_add_nc_u32_e32 v11, 1, v10
	s_mov_b32 s35, -1
	s_mov_b32 s34, exec_lo
	v_cmpx_lt_i32_e32 0x270e, v10
	s_cbranch_execz .LBB6_1084
; %bb.1088:                             ;   in Loop: Header=BB6_1086 Depth=4
	s_cbranch_execnz .LBB6_1608
; %bb.1089:                             ;   in Loop: Header=BB6_1086 Depth=4
	ds_load_b64 v[10:11], v0
	s_mov_b32 s36, exec_lo
	s_waitcnt vmcnt(0) lgkmcnt(0)
	s_waitcnt_vscnt null, 0x0
	flat_load_b32 v10, v[10:11] glc
	s_waitcnt vmcnt(0) lgkmcnt(0)
	buffer_gl1_inv
	buffer_gl0_inv
	v_cmpx_ne_u32_e32 0, v10
	s_cbranch_execz .LBB6_1083
; %bb.1090:                             ;   in Loop: Header=BB6_1086 Depth=4
	ds_store_b32 v0, v10
	s_cbranch_execnz .LBB6_1688
; %bb.1091:                             ;   in Loop: Header=BB6_1086 Depth=4
	v_or_b32_e32 v30, 64, v30
	s_xor_b32 s35, exec_lo, -1
	s_branch .LBB6_1083
.LBB6_1092:                             ;   in Loop: Header=BB6_1080 Depth=3
	s_or_b32 exec_lo, exec_lo, s28
	v_and_b32_e32 v10, 12, v30
.LBB6_1093:                             ;   in Loop: Header=BB6_1080 Depth=3
	s_or_b32 exec_lo, exec_lo, s20
	s_delay_alu instid0(VALU_DEP_1)
	v_cmp_eq_u32_e32 vcc_lo, 0, v10
	;;#ASMSTART
	s_wakeup
	;;#ASMEND
	s_or_not1_b32 s20, vcc_lo, exec_lo
.LBB6_1094:                             ;   in Loop: Header=BB6_1080 Depth=3
	s_or_b32 exec_lo, exec_lo, s13
	v_sub_nc_u32_e32 v2, v66, v52
	s_xor_b32 s6, s6, -1
	s_delay_alu instid0(SALU_CYCLE_1) | instskip(NEXT) | instid1(SALU_CYCLE_1)
	s_and_b32 s6, exec_lo, s6
	s_or_b32 s15, s6, s15
	s_delay_alu instid0(VALU_DEP_1) | instskip(SKIP_1) | instid1(SALU_CYCLE_1)
	v_min_i32_e32 v50, v50, v2
	s_xor_b32 s13, s20, -1
	s_and_saveexec_b32 s6, s13
	s_cbranch_execz .LBB6_1107
; %bb.1095:                             ;   in Loop: Header=BB6_1080 Depth=3
	v_and_b32_e32 v2, 0x108, v30
	s_delay_alu instid0(VALU_DEP_1) | instskip(SKIP_2) | instid1(SALU_CYCLE_1)
	v_cmp_ne_u32_e32 vcc_lo, 0x108, v2
	v_and_b32_e32 v2, 7, v22
	s_and_saveexec_b32 s13, vcc_lo
	s_xor_b32 s13, exec_lo, s13
	s_delay_alu instid0(SALU_CYCLE_1)
	s_and_not1_saveexec_b32 s13, s13
	s_cbranch_execz .LBB6_1097
; %bb.1096:                             ;   in Loop: Header=BB6_1080 Depth=3
	v_ashrrev_i32_e32 v51, 31, v50
	v_mad_u64_u32 v[8:9], null, v2, 24, v[6:7]
	s_delay_alu instid0(VALU_DEP_2)
	v_lshlrev_b64 v[10:11], 3, v[50:51]
	flat_store_b64 v[8:9], v[10:11] offset:8
.LBB6_1097:                             ;   in Loop: Header=BB6_1080 Depth=3
	s_or_b32 exec_lo, exec_lo, s13
	v_and_b32_e32 v8, 0x100, v30
	s_mov_b32 s13, -1
	s_delay_alu instid0(VALU_DEP_1)
	v_cmp_ne_u32_e32 vcc_lo, 0, v8
                                        ; implicit-def: $vgpr8_vgpr9
	s_and_saveexec_b32 s20, vcc_lo
	s_cbranch_execnz .LBB6_1100
; %bb.1098:                             ;   in Loop: Header=BB6_1080 Depth=3
	s_or_b32 exec_lo, exec_lo, s20
	s_and_saveexec_b32 s20, s13
	s_cbranch_execnz .LBB6_1103
.LBB6_1099:                             ;   in Loop: Header=BB6_1080 Depth=3
	s_or_b32 exec_lo, exec_lo, s20
	s_cbranch_execnz .LBB6_1598
	s_branch .LBB6_1104
.LBB6_1100:                             ;   in Loop: Header=BB6_1080 Depth=3
	v_mad_u64_u32 v[10:11], null, v2, 24, v[6:7]
	s_delay_alu instid0(VALU_DEP_1) | instskip(NEXT) | instid1(VALU_DEP_1)
	v_mov_b32_e32 v8, v11
	v_mad_u64_u32 v[53:54], null, v3, 24, v[8:9]
	s_delay_alu instid0(VALU_DEP_1) | instskip(SKIP_4) | instid1(VALU_DEP_1)
	v_mov_b32_e32 v11, v53
	flat_load_b32 v8, v[10:11]
	s_waitcnt vmcnt(0) lgkmcnt(0)
	v_cmp_ne_u32_e32 vcc_lo, 1, v8
	v_cmp_eq_u32_e64 s13, 1, v8
                                        ; implicit-def: $vgpr8_vgpr9
	s_and_saveexec_b32 s28, s13
	s_cbranch_execz .LBB6_1102
; %bb.1101:                             ;   in Loop: Header=BB6_1080 Depth=3
	flat_load_b32 v8, v[10:11] offset:4 glc
	s_waitcnt vmcnt(0) lgkmcnt(0)
	v_ashrrev_i32_e32 v9, 31, v8
	s_delay_alu instid0(VALU_DEP_1)
	v_lshrrev_b64 v[8:9], 3, v[8:9]
.LBB6_1102:                             ;   in Loop: Header=BB6_1080 Depth=3
	s_or_b32 exec_lo, exec_lo, s28
	s_delay_alu instid0(SALU_CYCLE_1)
	s_or_not1_b32 s13, vcc_lo, exec_lo
	s_or_b32 exec_lo, exec_lo, s20
	s_and_saveexec_b32 s20, s13
	s_cbranch_execz .LBB6_1099
.LBB6_1103:                             ;   in Loop: Header=BB6_1080 Depth=3
	v_mul_lo_u32 v10, v3, v81
	v_mul_lo_u32 v11, v2, v82
	v_mad_u64_u32 v[8:9], null, v2, v81, 0
	s_delay_alu instid0(VALU_DEP_1)
	v_add3_u32 v9, v9, v11, v10
	s_or_b32 exec_lo, exec_lo, s20
	s_cbranch_execnz .LBB6_1598
.LBB6_1104:                             ;   in Loop: Header=BB6_1080 Depth=3
	s_delay_alu instid0(VALU_DEP_1) | instskip(SKIP_2) | instid1(VALU_DEP_2)
	v_lshlrev_b64 v[8:9], 3, v[8:9]
	v_and_b32_e32 v2, 0x2000, v30
	s_mov_b32 s13, exec_lo
	v_add_co_u32 v8, vcc_lo, v24, v8
	s_delay_alu instid0(VALU_DEP_3)
	v_add_co_ci_u32_e32 v9, vcc_lo, v25, v9, vcc_lo
	ds_store_b64 v0, v[8:9]
	v_cmpx_ne_u32_e32 0, v2
	s_cbranch_execz .LBB6_1106
; %bb.1105:                             ;   in Loop: Header=BB6_1080 Depth=3
	ds_load_b64 v[8:9], v0 offset:584
	s_waitcnt lgkmcnt(0)
	v_add_co_u32 v8, vcc_lo, v8, 1
	v_add_co_ci_u32_e32 v9, vcc_lo, 0, v9, vcc_lo
	ds_store_b64 v0, v[8:9] offset:584
.LBB6_1106:                             ;   in Loop: Header=BB6_1080 Depth=3
	s_or_b32 exec_lo, exec_lo, s13
	v_add_co_u32 v22, vcc_lo, v22, 2
	v_add_co_ci_u32_e32 v23, vcc_lo, 0, v23, vcc_lo
.LBB6_1107:                             ;   in Loop: Header=BB6_1080 Depth=3
	s_or_b32 exec_lo, exec_lo, s6
	s_and_saveexec_b32 s6, s3
	s_cbranch_execz .LBB6_1129
; %bb.1108:                             ;   in Loop: Header=BB6_1080 Depth=3
	s_and_saveexec_b32 s13, s4
	s_delay_alu instid0(SALU_CYCLE_1)
	s_xor_b32 s13, exec_lo, s13
	s_cbranch_execz .LBB6_1126
; %bb.1109:                             ;   in Loop: Header=BB6_1080 Depth=3
	s_and_saveexec_b32 s20, s1
	s_cbranch_execz .LBB6_1125
; %bb.1110:                             ;   in Loop: Header=BB6_1080 Depth=3
	s_mov_b32 s30, exec_lo
	s_mov_b32 s28, exec_lo
	v_mbcnt_lo_u32_b32 v2, s30, 0
	s_waitcnt lgkmcnt(0)
	s_waitcnt_vscnt null, 0x0
	buffer_gl1_inv
	buffer_gl0_inv
	v_cmpx_eq_u32_e32 0, v2
	s_cbranch_execz .LBB6_1112
; %bb.1111:                             ;   in Loop: Header=BB6_1080 Depth=3
	s_bcnt1_i32_b32 vcc_lo, s30
	s_delay_alu instid0(SALU_CYCLE_1)
	v_mov_b32_e32 v2, vcc_lo
	ds_add_u64 v0, v[2:3]
	s_cbranch_execnz .LBB6_1744
.LBB6_1112:                             ;   in Loop: Header=BB6_1080 Depth=3
	s_or_b32 exec_lo, exec_lo, s28
	s_cbranch_execnz .LBB6_1714
; %bb.1113:                             ;   in Loop: Header=BB6_1080 Depth=3
	ds_load_b64 v[8:9], v0
	v_add_co_u32 v12, vcc_lo, v12, v83
	v_add_co_ci_u32_e32 v13, vcc_lo, 0, v13, vcc_lo
	s_mov_b32 s28, exec_lo
	s_waitcnt lgkmcnt(0)
	s_delay_alu instid0(VALU_DEP_1)
	v_cmpx_lt_u64_e64 v[8:9], v[12:13]
	s_cbranch_execz .LBB6_1124
; %bb.1114:                             ;   in Loop: Header=BB6_1080 Depth=3
	s_mov_b32 s30, 0
	s_mov_b32 s35, 0
                                        ; implicit-def: $sgpr31
                                        ; implicit-def: $sgpr34
	s_branch .LBB6_1116
.LBB6_1115:                             ;   in Loop: Header=BB6_1116 Depth=4
	s_or_b32 exec_lo, exec_lo, s37
	s_delay_alu instid0(SALU_CYCLE_1) | instskip(NEXT) | instid1(SALU_CYCLE_1)
	s_and_b32 vcc_lo, exec_lo, vcc_lo
	s_or_b32 s30, vcc_lo, s30
	s_and_not1_b32 vcc_lo, s31, exec_lo
	s_and_b32 s31, s34, exec_lo
	s_delay_alu instid0(SALU_CYCLE_1)
	s_or_b32 s31, vcc_lo, s31
	s_and_not1_b32 exec_lo, exec_lo, s30
	s_cbranch_execz .LBB6_1122
.LBB6_1116:                             ;   Parent Loop BB6_51 Depth=1
                                        ;     Parent Loop BB6_869 Depth=2
                                        ;       Parent Loop BB6_1080 Depth=3
                                        ; =>      This Inner Loop Header: Depth=4
	s_add_i32 s35, s35, 1
                                        ; implicit-def: $sgpr37
	s_delay_alu instid0(SALU_CYCLE_1) | instskip(SKIP_1) | instid1(SALU_CYCLE_1)
	s_cmpk_lg_i32 s35, 0x2710
	s_cselect_b32 s36, -1, 0
	s_and_b32 vcc_lo, exec_lo, s36
	s_cbranch_vccz .LBB6_1120
.LBB6_1117:                             ;   in Loop: Header=BB6_1116 Depth=4
	s_and_not1_b32 s34, s34, exec_lo
	s_and_b32 s37, s37, exec_lo
	s_mov_b32 vcc_lo, -1
	s_or_b32 s34, s34, s37
	s_and_saveexec_b32 s37, s36
	s_cbranch_execz .LBB6_1115
; %bb.1118:                             ;   in Loop: Header=BB6_1116 Depth=4
	s_sleep 1
	s_cbranch_execnz .LBB6_1794
; %bb.1119:                             ;   in Loop: Header=BB6_1116 Depth=4
	ds_load_b64 v[8:9], v0
	s_and_not1_b32 s34, s34, exec_lo
	s_waitcnt lgkmcnt(0)
	v_cmp_ge_u64_e32 vcc_lo, v[8:9], v[12:13]
	s_or_not1_b32 vcc_lo, vcc_lo, exec_lo
	s_branch .LBB6_1115
.LBB6_1120:                             ;   in Loop: Header=BB6_1116 Depth=4
	s_cbranch_execnz .LBB6_1814
; %bb.1121:                             ;   in Loop: Header=BB6_1116 Depth=4
	ds_load_b64 v[8:9], v0
	s_and_not1_b32 s36, s36, exec_lo
	s_mov_b32 s35, 0
	s_mov_b32 s37, -1
	s_waitcnt lgkmcnt(0)
	flat_load_b32 v2, v[8:9] glc
	s_waitcnt vmcnt(0) lgkmcnt(0)
	buffer_gl1_inv
	buffer_gl0_inv
	v_cmp_eq_u32_e32 vcc_lo, 0, v2
	s_and_b32 vcc_lo, vcc_lo, exec_lo
	s_delay_alu instid0(SALU_CYCLE_1)
	s_or_b32 s36, s36, vcc_lo
	s_branch .LBB6_1117
.LBB6_1122:                             ;   in Loop: Header=BB6_1080 Depth=3
	s_or_b32 exec_lo, exec_lo, s30
	s_and_saveexec_b32 vcc_lo, s31
	s_delay_alu instid0(SALU_CYCLE_1)
	s_xor_b32 vcc_lo, exec_lo, vcc_lo
	s_cbranch_execz .LBB6_1124
; %bb.1123:                             ;   in Loop: Header=BB6_1080 Depth=3
	ds_store_b32 v0, v130
	s_cbranch_execnz .LBB6_1928
.LBB6_1124:                             ;   in Loop: Header=BB6_1080 Depth=3
	s_or_b32 exec_lo, exec_lo, s28
	;;#ASMSTART
	s_wakeup
	;;#ASMEND
.LBB6_1125:                             ;   in Loop: Header=BB6_1080 Depth=3
	s_or_b32 exec_lo, exec_lo, s20
.LBB6_1126:                             ;   in Loop: Header=BB6_1080 Depth=3
	s_and_not1_saveexec_b32 s13, s13
	s_cbranch_execz .LBB6_1128
; %bb.1127:                             ;   in Loop: Header=BB6_1080 Depth=3
	s_waitcnt lgkmcnt(0)
	s_waitcnt_vscnt null, 0x0
	buffer_gl1_inv
	buffer_gl0_inv
	s_barrier
.LBB6_1128:                             ;   in Loop: Header=BB6_1080 Depth=3
	s_or_b32 exec_lo, exec_lo, s13
.LBB6_1129:                             ;   in Loop: Header=BB6_1080 Depth=3
	s_delay_alu instid0(SALU_CYCLE_1) | instskip(SKIP_1) | instid1(SALU_CYCLE_1)
	s_or_b32 exec_lo, exec_lo, s6
                                        ; implicit-def: $vgpr2
	s_and_saveexec_b32 s6, s7
	s_xor_b32 s6, exec_lo, s6
	s_cbranch_execz .LBB6_1134
; %bb.1130:                             ;   in Loop: Header=BB6_1080 Depth=3
	s_cbranch_execnz .LBB6_1630
; %bb.1131:                             ;   in Loop: Header=BB6_1080 Depth=3
	ds_load_b32 v2, v0
	v_cmp_lt_i32_e32 vcc_lo, 0, v50
	s_waitcnt lgkmcnt(0)
	v_readfirstlane_b32 s13, v2
	v_and_b32_e32 v2, 16, v30
	s_delay_alu instid0(VALU_DEP_2) | instskip(NEXT) | instid1(VALU_DEP_1)
	s_cmp_eq_u32 s13, 0
	v_cmp_ne_u32_e64 s13, 0, v2
	s_cselect_b32 s20, -1, 0
	v_and_b32_e32 v2, 16, v30
	s_and_b32 s20, vcc_lo, s20
	s_delay_alu instid0(VALU_DEP_2) | instid1(SALU_CYCLE_1)
	s_and_b32 s20, s13, s20
	s_delay_alu instid0(SALU_CYCLE_1)
	s_and_saveexec_b32 s13, s20
	s_cbranch_execz .LBB6_1133
; %bb.1132:                             ;   in Loop: Header=BB6_1080 Depth=3
	v_mov_b32_e32 v2, 1
	s_waitcnt_vscnt null, 0x0
	buffer_gl1_inv
	buffer_gl0_inv
.LBB6_1133:                             ;   in Loop: Header=BB6_1080 Depth=3
	s_or_b32 exec_lo, exec_lo, s13
.LBB6_1134:                             ;   in Loop: Header=BB6_1080 Depth=3
	s_and_not1_saveexec_b32 s6, s6
	s_cbranch_execz .LBB6_1156
; %bb.1135:                             ;   in Loop: Header=BB6_1080 Depth=3
	s_and_saveexec_b32 s13, s4
	s_delay_alu instid0(SALU_CYCLE_1)
	s_xor_b32 s13, exec_lo, s13
	s_cbranch_execz .LBB6_1153
; %bb.1136:                             ;   in Loop: Header=BB6_1080 Depth=3
	s_and_saveexec_b32 s20, s1
	s_cbranch_execz .LBB6_1152
; %bb.1137:                             ;   in Loop: Header=BB6_1080 Depth=3
	s_mov_b32 s30, exec_lo
	s_mov_b32 s28, exec_lo
	v_mbcnt_lo_u32_b32 v2, s30, 0
	;;#ASMSTART
	s_waitcnt lgkmcnt(0) vmcnt(0)
	;;#ASMEND
	s_delay_alu instid0(VALU_DEP_1)
	v_cmpx_eq_u32_e32 0, v2
	s_cbranch_execz .LBB6_1139
; %bb.1138:                             ;   in Loop: Header=BB6_1080 Depth=3
	s_bcnt1_i32_b32 vcc_lo, s30
	s_delay_alu instid0(SALU_CYCLE_1)
	v_mov_b32_e32 v2, vcc_lo
	ds_add_u64 v0, v[2:3]
	s_cbranch_execnz .LBB6_1766
.LBB6_1139:                             ;   in Loop: Header=BB6_1080 Depth=3
	s_or_b32 exec_lo, exec_lo, s28
	s_cbranch_execnz .LBB6_1742
; %bb.1140:                             ;   in Loop: Header=BB6_1080 Depth=3
	ds_load_b64 v[8:9], v0
	v_add_co_u32 v12, vcc_lo, v12, v83
	v_add_co_ci_u32_e32 v13, vcc_lo, 0, v13, vcc_lo
	s_mov_b32 s28, exec_lo
	s_waitcnt lgkmcnt(0)
	s_delay_alu instid0(VALU_DEP_1)
	v_cmpx_lt_u64_e64 v[8:9], v[12:13]
	s_cbranch_execz .LBB6_1151
; %bb.1141:                             ;   in Loop: Header=BB6_1080 Depth=3
	s_mov_b32 s30, 0
	s_mov_b32 s35, 0
                                        ; implicit-def: $sgpr31
                                        ; implicit-def: $sgpr34
	s_branch .LBB6_1143
.LBB6_1142:                             ;   in Loop: Header=BB6_1143 Depth=4
	s_or_b32 exec_lo, exec_lo, s37
	s_delay_alu instid0(SALU_CYCLE_1) | instskip(NEXT) | instid1(SALU_CYCLE_1)
	s_and_b32 vcc_lo, exec_lo, vcc_lo
	s_or_b32 s30, vcc_lo, s30
	s_and_not1_b32 vcc_lo, s31, exec_lo
	s_and_b32 s31, s34, exec_lo
	s_delay_alu instid0(SALU_CYCLE_1)
	s_or_b32 s31, vcc_lo, s31
	s_and_not1_b32 exec_lo, exec_lo, s30
	s_cbranch_execz .LBB6_1149
.LBB6_1143:                             ;   Parent Loop BB6_51 Depth=1
                                        ;     Parent Loop BB6_869 Depth=2
                                        ;       Parent Loop BB6_1080 Depth=3
                                        ; =>      This Inner Loop Header: Depth=4
	s_add_i32 s35, s35, 1
                                        ; implicit-def: $sgpr37
	s_delay_alu instid0(SALU_CYCLE_1) | instskip(SKIP_1) | instid1(SALU_CYCLE_1)
	s_cmpk_lg_i32 s35, 0x2710
	s_cselect_b32 s36, -1, 0
	s_and_b32 vcc_lo, exec_lo, s36
	s_cbranch_vccz .LBB6_1147
.LBB6_1144:                             ;   in Loop: Header=BB6_1143 Depth=4
	s_and_not1_b32 s34, s34, exec_lo
	s_and_b32 s37, s37, exec_lo
	s_mov_b32 vcc_lo, -1
	s_or_b32 s34, s34, s37
	s_and_saveexec_b32 s37, s36
	s_cbranch_execz .LBB6_1142
; %bb.1145:                             ;   in Loop: Header=BB6_1143 Depth=4
	s_sleep 1
	s_cbranch_execnz .LBB6_1826
; %bb.1146:                             ;   in Loop: Header=BB6_1143 Depth=4
	ds_load_b64 v[8:9], v0
	s_and_not1_b32 s34, s34, exec_lo
	s_waitcnt lgkmcnt(0)
	v_cmp_ge_u64_e32 vcc_lo, v[8:9], v[12:13]
	s_or_not1_b32 vcc_lo, vcc_lo, exec_lo
	s_branch .LBB6_1142
.LBB6_1147:                             ;   in Loop: Header=BB6_1143 Depth=4
	s_cbranch_execnz .LBB6_1838
; %bb.1148:                             ;   in Loop: Header=BB6_1143 Depth=4
	ds_load_b64 v[8:9], v0
	s_and_not1_b32 s36, s36, exec_lo
	s_mov_b32 s35, 0
	s_mov_b32 s37, -1
	s_waitcnt lgkmcnt(0)
	s_waitcnt_vscnt null, 0x0
	flat_load_b32 v2, v[8:9] glc
	s_waitcnt vmcnt(0) lgkmcnt(0)
	buffer_gl1_inv
	buffer_gl0_inv
	v_cmp_eq_u32_e32 vcc_lo, 0, v2
	s_and_b32 vcc_lo, vcc_lo, exec_lo
	s_delay_alu instid0(SALU_CYCLE_1)
	s_or_b32 s36, s36, vcc_lo
	s_branch .LBB6_1144
.LBB6_1149:                             ;   in Loop: Header=BB6_1080 Depth=3
	s_or_b32 exec_lo, exec_lo, s30
	s_and_saveexec_b32 vcc_lo, s31
	s_delay_alu instid0(SALU_CYCLE_1)
	s_xor_b32 vcc_lo, exec_lo, vcc_lo
	s_cbranch_execz .LBB6_1151
; %bb.1150:                             ;   in Loop: Header=BB6_1080 Depth=3
	ds_store_b32 v0, v130
	s_cbranch_execnz .LBB6_1938
.LBB6_1151:                             ;   in Loop: Header=BB6_1080 Depth=3
	s_or_b32 exec_lo, exec_lo, s28
	;;#ASMSTART
	s_wakeup
	;;#ASMEND
.LBB6_1152:                             ;   in Loop: Header=BB6_1080 Depth=3
	s_or_b32 exec_lo, exec_lo, s20
.LBB6_1153:                             ;   in Loop: Header=BB6_1080 Depth=3
	s_and_not1_saveexec_b32 s13, s13
	s_cbranch_execz .LBB6_1155
; %bb.1154:                             ;   in Loop: Header=BB6_1080 Depth=3
	;;#ASMSTART
	s_waitcnt lgkmcnt(0) vmcnt(0)
	;;#ASMEND
	s_waitcnt lgkmcnt(0)
	s_waitcnt_vscnt null, 0x0
	s_barrier
.LBB6_1155:                             ;   in Loop: Header=BB6_1080 Depth=3
	s_or_b32 exec_lo, exec_lo, s13
	v_and_b32_e32 v2, 16, v30
.LBB6_1156:                             ;   in Loop: Header=BB6_1080 Depth=3
	s_or_b32 exec_lo, exec_lo, s6
	s_delay_alu instid0(VALU_DEP_1) | instskip(SKIP_1) | instid1(SALU_CYCLE_1)
	v_cmp_ne_u32_e32 vcc_lo, 0, v2
	s_xor_b32 s6, s10, -1
	s_and_b32 s13, vcc_lo, s6
	s_delay_alu instid0(SALU_CYCLE_1)
	s_and_saveexec_b32 s6, s13
	s_cbranch_execz .LBB6_1158
; %bb.1157:                             ;   in Loop: Header=BB6_1080 Depth=3
	s_waitcnt lgkmcnt(0)
	s_waitcnt_vscnt null, 0x0
	flat_store_b32 v[26:27], v130
.LBB6_1158:                             ;   in Loop: Header=BB6_1080 Depth=3
	s_or_b32 exec_lo, exec_lo, s6
	v_and_b32_e32 v2, 48, v30
	s_mov_b32 s6, exec_lo
	s_delay_alu instid0(VALU_DEP_1)
	v_cmpx_ne_u32_e32 0, v2
	s_cbranch_execz .LBB6_1160
; %bb.1159:                             ;   in Loop: Header=BB6_1080 Depth=3
	v_add_co_u32 v22, vcc_lo, v22, 2
	v_add_co_ci_u32_e32 v23, vcc_lo, 0, v23, vcc_lo
	s_waitcnt lgkmcnt(0)
	s_waitcnt_vscnt null, 0x0
	flat_store_b64 v[20:21], v[22:23]
.LBB6_1160:                             ;   in Loop: Header=BB6_1080 Depth=3
	s_or_b32 exec_lo, exec_lo, s6
	v_add_nc_u32_e32 v52, v50, v52
	s_mov_b32 s6, 0
	s_and_not1_b32 exec_lo, exec_lo, s15
	s_cbranch_execnz .LBB6_1080
; %bb.1161:                             ;   in Loop: Header=BB6_869 Depth=2
	s_or_b32 exec_lo, exec_lo, s15
.LBB6_1162:                             ;   in Loop: Header=BB6_869 Depth=2
	s_delay_alu instid0(SALU_CYCLE_1) | instskip(SKIP_2) | instid1(VALU_DEP_2)
	s_or_b32 exec_lo, exec_lo, s14
	v_readlane_b32 s14, v47, 16
	v_readlane_b32 s13, v47, 11
	s_add_i32 s6, s14, 1
	s_delay_alu instid0(VALU_DEP_1)
	s_cmp_eq_u32 s14, s13
	s_cbranch_scc0 .LBB6_869
.LBB6_1163:                             ;   in Loop: Header=BB6_51 Depth=1
	v_readlane_b32 s6, v47, 10
	s_mov_b32 s13, s17
	s_mov_b32 s30, 0
	v_mul_lo_u32 v2, v37, s13
	v_mad_u64_u32 v[9:10], null, v36, s13, 0
	v_mul_lo_u32 v8, v36, s6
	s_delay_alu instid0(VALU_DEP_2) | instskip(NEXT) | instid1(VALU_DEP_2)
	v_sub_co_u32 v38, vcc_lo, v38, v9
	v_add3_u32 v10, v10, v8, v2
	s_delay_alu instid0(VALU_DEP_1) | instskip(NEXT) | instid1(VALU_DEP_1)
	v_sub_co_ci_u32_e32 v39, vcc_lo, v39, v10, vcc_lo
	v_cmp_lt_i64_e32 vcc_lo, v[36:37], v[38:39]
	v_cndmask_b32_e32 v8, v38, v36, vcc_lo
	s_delay_alu instid0(VALU_DEP_1) | instskip(NEXT) | instid1(VALU_DEP_1)
	v_max_i32_e32 v50, 0, v8
	v_add_nc_u32_e32 v2, 31, v50
	s_delay_alu instid0(VALU_DEP_1) | instskip(NEXT) | instid1(VALU_DEP_1)
	v_lshrrev_b32_e32 v2, 1, v2
	v_and_b32_e32 v11, 0x3ffffff0, v2
	v_cmp_lt_i32_e32 vcc_lo, 0, v8
	v_mov_b32_e32 v2, 0
	v_mov_b32_e32 v8, 0
	s_delay_alu instid0(VALU_DEP_4) | instskip(SKIP_1) | instid1(SALU_CYCLE_1)
	v_max_i32_e32 v51, s25, v11
	s_and_b32 s6, s16, vcc_lo
	s_and_saveexec_b32 s15, s6
	s_cbranch_execz .LBB6_1325
; %bb.1164:                             ;   in Loop: Header=BB6_51 Depth=1
	v_add_co_u32 v8, vcc_lo, v9, v48
	v_add_co_ci_u32_e32 v9, vcc_lo, v10, v49, vcc_lo
	s_mov_b32 s34, 1
	s_mov_b32 s31, -1
	s_delay_alu instid0(VALU_DEP_1)
	v_lshlrev_b64 v[10:11], 3, v[8:9]
	v_mov_b32_e32 v8, 0
.LBB6_1165:                             ;   Parent Loop BB6_51 Depth=1
                                        ; =>  This Loop Header: Depth=2
                                        ;       Child Loop BB6_1174 Depth 3
                                        ;       Child Loop BB6_1201 Depth 3
	;; [unrolled: 1-line block ×9, first 2 shown]
	s_and_saveexec_b32 s6, s0
	s_cbranch_execz .LBB6_1168
; %bb.1166:                             ;   in Loop: Header=BB6_1165 Depth=2
	s_cbranch_execnz .LBB6_1580
; %bb.1167:                             ;   in Loop: Header=BB6_1165 Depth=2
	ds_load_b128 v[52:55], v0
	v_ashrrev_i32_e32 v9, 31, v8
	s_delay_alu instid0(VALU_DEP_1)
	v_lshlrev_b64 v[38:39], 3, v[8:9]
	s_waitcnt lgkmcnt(0)
	v_add_co_u32 v2, vcc_lo, v54, v10
	v_add_co_ci_u32_e32 v9, vcc_lo, v55, v11, vcc_lo
	v_add_co_u32 v48, vcc_lo, v52, v10
	v_add_co_ci_u32_e32 v49, vcc_lo, v53, v11, vcc_lo
	s_delay_alu instid0(VALU_DEP_4) | instskip(NEXT) | instid1(VALU_DEP_4)
	v_add_co_u32 v2, vcc_lo, v2, v38
	v_add_co_ci_u32_e32 v9, vcc_lo, v9, v39, vcc_lo
	v_cmp_ne_u64_e32 vcc_lo, 0, v[54:55]
	v_add_co_u32 v38, s13, v48, v38
	s_delay_alu instid0(VALU_DEP_1) | instskip(NEXT) | instid1(VALU_DEP_4)
	v_add_co_ci_u32_e64 v39, s13, v49, v39, s13
	v_dual_cndmask_b32 v49, 0, v9 :: v_dual_cndmask_b32 v48, 0, v2
	ds_store_b64 v0, v[38:39]
	ds_store_b64 v0, v[48:49]
.LBB6_1168:                             ;   in Loop: Header=BB6_1165 Depth=2
	s_or_b32 exec_lo, exec_lo, s6
	v_and_b32_e32 v2, 4, v30
	s_mov_b32 s13, -1
	s_mov_b32 s6, exec_lo
	s_delay_alu instid0(VALU_DEP_1)
	v_cmpx_ne_u32_e32 0, v2
	s_cbranch_execz .LBB6_1182
; %bb.1169:                             ;   in Loop: Header=BB6_1165 Depth=2
	v_add_co_u32 v38, vcc_lo, v22, 2
	v_add_co_ci_u32_e32 v39, vcc_lo, 0, v23, vcc_lo
	v_mov_b32_e32 v2, 1
	s_mov_b32 s13, exec_lo
	s_delay_alu instid0(VALU_DEP_2)
	v_cmpx_lt_u64_e64 v[28:29], v[38:39]
	s_cbranch_execz .LBB6_1181
; %bb.1170:                             ;   in Loop: Header=BB6_1165 Depth=2
	v_mov_b32_e32 v2, 0
	s_mov_b32 s14, 0
                                        ; implicit-def: $sgpr20
	s_branch .LBB6_1174
.LBB6_1171:                             ;   in Loop: Header=BB6_1174 Depth=3
	s_or_b32 exec_lo, exec_lo, s37
	v_mov_b32_e32 v9, 0
	s_or_not1_b32 s36, s36, exec_lo
.LBB6_1172:                             ;   in Loop: Header=BB6_1174 Depth=3
	s_or_b32 exec_lo, exec_lo, s35
	s_delay_alu instid0(VALU_DEP_1) | instskip(SKIP_2) | instid1(SALU_CYCLE_1)
	v_mov_b32_e32 v2, v9
	s_and_not1_b32 s20, s20, exec_lo
	s_and_b32 vcc_lo, s36, exec_lo
	s_or_b32 s20, s20, vcc_lo
.LBB6_1173:                             ;   in Loop: Header=BB6_1174 Depth=3
	s_or_b32 exec_lo, exec_lo, s28
	s_waitcnt vmcnt(0) lgkmcnt(0)
	v_cmp_ge_u64_e32 vcc_lo, v[28:29], v[38:39]
	s_xor_b32 s28, s20, -1
	s_delay_alu instid0(SALU_CYCLE_1) | instskip(NEXT) | instid1(SALU_CYCLE_1)
	s_or_b32 s28, s28, vcc_lo
	s_and_b32 s28, exec_lo, s28
	s_delay_alu instid0(SALU_CYCLE_1) | instskip(NEXT) | instid1(SALU_CYCLE_1)
	s_or_b32 s14, s28, s14
	s_and_not1_b32 exec_lo, exec_lo, s14
	s_cbranch_execz .LBB6_1180
.LBB6_1174:                             ;   Parent Loop BB6_51 Depth=1
                                        ;     Parent Loop BB6_1165 Depth=2
                                        ; =>    This Inner Loop Header: Depth=3
	s_sleep 1
	flat_load_b64 v[28:29], v[20:21] glc
	v_and_b32_e32 v9, 64, v30
	s_and_not1_b32 s20, s20, exec_lo
	s_mov_b32 s28, exec_lo
	s_delay_alu instid0(VALU_DEP_1)
	v_cmpx_eq_u32_e32 0, v9
	s_cbranch_execz .LBB6_1173
; %bb.1175:                             ;   in Loop: Header=BB6_1174 Depth=3
	v_add_nc_u32_e32 v9, 1, v2
	s_mov_b32 s36, -1
	s_mov_b32 s35, exec_lo
	v_cmpx_lt_i32_e32 0x270e, v2
	s_cbranch_execz .LBB6_1172
; %bb.1176:                             ;   in Loop: Header=BB6_1174 Depth=3
	s_cbranch_execnz .LBB6_1626
; %bb.1177:                             ;   in Loop: Header=BB6_1174 Depth=3
	ds_load_b64 v[48:49], v0
	s_mov_b32 s37, exec_lo
	s_waitcnt vmcnt(0) lgkmcnt(0)
	s_waitcnt_vscnt null, 0x0
	flat_load_b32 v2, v[48:49] glc
	s_waitcnt vmcnt(0) lgkmcnt(0)
	buffer_gl1_inv
	buffer_gl0_inv
	v_cmpx_ne_u32_e32 0, v2
	s_cbranch_execz .LBB6_1171
; %bb.1178:                             ;   in Loop: Header=BB6_1174 Depth=3
	ds_store_b32 v0, v2
	s_cbranch_execnz .LBB6_1696
; %bb.1179:                             ;   in Loop: Header=BB6_1174 Depth=3
	v_or_b32_e32 v30, 64, v30
	s_xor_b32 s36, exec_lo, -1
	s_branch .LBB6_1171
.LBB6_1180:                             ;   in Loop: Header=BB6_1165 Depth=2
	s_or_b32 exec_lo, exec_lo, s14
	v_and_b32_e32 v2, 4, v30
.LBB6_1181:                             ;   in Loop: Header=BB6_1165 Depth=2
	s_or_b32 exec_lo, exec_lo, s13
	s_delay_alu instid0(VALU_DEP_1)
	v_cmp_eq_u32_e32 vcc_lo, 0, v2
	;;#ASMSTART
	s_wakeup
	;;#ASMEND
	s_or_not1_b32 s13, vcc_lo, exec_lo
.LBB6_1182:                             ;   in Loop: Header=BB6_1165 Depth=2
	s_or_b32 exec_lo, exec_lo, s6
	s_xor_b32 s13, s13, -1
	s_delay_alu instid0(SALU_CYCLE_1)
	s_and_saveexec_b32 s6, s13
	s_cbranch_execz .LBB6_1192
; %bb.1183:                             ;   in Loop: Header=BB6_1165 Depth=2
	v_and_b32_e32 v2, 0x100, v30
	s_mov_b32 s13, -1
                                        ; implicit-def: $vgpr38_vgpr39
	s_delay_alu instid0(VALU_DEP_1)
	v_cmp_ne_u32_e32 vcc_lo, 0, v2
	v_and_b32_e32 v2, 7, v22
	s_and_saveexec_b32 s14, vcc_lo
	s_cbranch_execz .LBB6_1187
; %bb.1184:                             ;   in Loop: Header=BB6_1165 Depth=2
	s_delay_alu instid0(VALU_DEP_1)
	v_mad_u64_u32 v[48:49], null, v2, 24, v[6:7]
	s_mov_b32 s20, exec_lo
                                        ; implicit-def: $vgpr38_vgpr39
	flat_load_b32 v9, v[48:49]
	s_waitcnt vmcnt(0) lgkmcnt(0)
	v_cmp_ne_u32_e32 vcc_lo, 1, v9
	v_cmpx_eq_u32_e32 1, v9
	s_cbranch_execz .LBB6_1186
; %bb.1185:                             ;   in Loop: Header=BB6_1165 Depth=2
	flat_load_b32 v38, v[48:49] offset:4 glc
	s_waitcnt vmcnt(0) lgkmcnt(0)
	v_ashrrev_i32_e32 v39, 31, v38
	s_delay_alu instid0(VALU_DEP_1)
	v_lshrrev_b64 v[38:39], 3, v[38:39]
.LBB6_1186:                             ;   in Loop: Header=BB6_1165 Depth=2
	s_or_b32 exec_lo, exec_lo, s20
	s_delay_alu instid0(SALU_CYCLE_1)
	s_or_not1_b32 s13, vcc_lo, exec_lo
.LBB6_1187:                             ;   in Loop: Header=BB6_1165 Depth=2
	s_or_b32 exec_lo, exec_lo, s14
	s_and_saveexec_b32 s14, s13
; %bb.1188:                             ;   in Loop: Header=BB6_1165 Depth=2
	v_mad_i64_i32 v[38:39], null, v2, v81, 0
; %bb.1189:                             ;   in Loop: Header=BB6_1165 Depth=2
	s_or_b32 exec_lo, exec_lo, s14
	s_delay_alu instid0(VALU_DEP_1) | instskip(SKIP_2) | instid1(VALU_DEP_2)
	v_lshlrev_b64 v[38:39], 3, v[38:39]
	v_and_b32_e32 v2, 0x2000, v30
	s_mov_b32 s13, exec_lo
	v_add_co_u32 v38, vcc_lo, v24, v38
	s_delay_alu instid0(VALU_DEP_3)
	v_add_co_ci_u32_e32 v39, vcc_lo, v25, v39, vcc_lo
	ds_store_b64 v0, v[38:39] offset:720
	v_cmpx_ne_u32_e32 0, v2
	s_cbranch_execz .LBB6_1191
; %bb.1190:                             ;   in Loop: Header=BB6_1165 Depth=2
	ds_load_b64 v[38:39], v0 offset:584
	s_waitcnt lgkmcnt(0)
	v_add_co_u32 v38, vcc_lo, v38, 1
	v_add_co_ci_u32_e32 v39, vcc_lo, 0, v39, vcc_lo
	ds_store_b64 v0, v[38:39] offset:584
.LBB6_1191:                             ;   in Loop: Header=BB6_1165 Depth=2
	s_or_b32 exec_lo, exec_lo, s13
	v_add_co_u32 v22, vcc_lo, v22, 2
	v_add_co_ci_u32_e32 v23, vcc_lo, 0, v23, vcc_lo
.LBB6_1192:                             ;   in Loop: Header=BB6_1165 Depth=2
	s_or_b32 exec_lo, exec_lo, s6
	s_and_saveexec_b32 s6, s3
	s_cbranch_execz .LBB6_1214
; %bb.1193:                             ;   in Loop: Header=BB6_1165 Depth=2
	s_and_saveexec_b32 s13, s4
	s_delay_alu instid0(SALU_CYCLE_1)
	s_xor_b32 s13, exec_lo, s13
	s_cbranch_execz .LBB6_1211
; %bb.1194:                             ;   in Loop: Header=BB6_1165 Depth=2
	s_and_saveexec_b32 s14, s1
	s_cbranch_execz .LBB6_1210
; %bb.1195:                             ;   in Loop: Header=BB6_1165 Depth=2
	s_mov_b32 s28, exec_lo
	s_mov_b32 s20, exec_lo
	v_mbcnt_lo_u32_b32 v2, s28, 0
	s_waitcnt lgkmcnt(0)
	s_waitcnt_vscnt null, 0x0
	buffer_gl1_inv
	buffer_gl0_inv
	v_cmpx_eq_u32_e32 0, v2
	s_cbranch_execz .LBB6_1197
; %bb.1196:                             ;   in Loop: Header=BB6_1165 Depth=2
	s_bcnt1_i32_b32 s28, s28
	s_delay_alu instid0(SALU_CYCLE_1)
	v_mov_b32_e32 v2, s28
	ds_add_u64 v0, v[2:3]
	s_cbranch_execnz .LBB6_1738
.LBB6_1197:                             ;   in Loop: Header=BB6_1165 Depth=2
	s_or_b32 exec_lo, exec_lo, s20
	s_cbranch_execnz .LBB6_1706
; %bb.1198:                             ;   in Loop: Header=BB6_1165 Depth=2
	ds_load_b64 v[38:39], v0
	v_add_co_u32 v12, vcc_lo, v12, v83
	v_add_co_ci_u32_e32 v13, vcc_lo, 0, v13, vcc_lo
	s_mov_b32 s20, exec_lo
	s_waitcnt lgkmcnt(0)
	s_delay_alu instid0(VALU_DEP_1)
	v_cmpx_lt_u64_e64 v[38:39], v[12:13]
	s_cbranch_execz .LBB6_1209
; %bb.1199:                             ;   in Loop: Header=BB6_1165 Depth=2
	s_mov_b32 s28, 0
	s_mov_b32 s37, 0
                                        ; implicit-def: $sgpr35
                                        ; implicit-def: $sgpr36
	s_branch .LBB6_1201
.LBB6_1200:                             ;   in Loop: Header=BB6_1201 Depth=3
	s_or_b32 exec_lo, exec_lo, s39
	s_delay_alu instid0(SALU_CYCLE_1) | instskip(NEXT) | instid1(SALU_CYCLE_1)
	s_and_b32 vcc_lo, exec_lo, vcc_lo
	s_or_b32 s28, vcc_lo, s28
	s_and_not1_b32 vcc_lo, s35, exec_lo
	s_and_b32 s35, s36, exec_lo
	s_delay_alu instid0(SALU_CYCLE_1)
	s_or_b32 s35, vcc_lo, s35
	s_and_not1_b32 exec_lo, exec_lo, s28
	s_cbranch_execz .LBB6_1207
.LBB6_1201:                             ;   Parent Loop BB6_51 Depth=1
                                        ;     Parent Loop BB6_1165 Depth=2
                                        ; =>    This Inner Loop Header: Depth=3
	s_add_i32 s37, s37, 1
                                        ; implicit-def: $sgpr39
	s_delay_alu instid0(SALU_CYCLE_1) | instskip(SKIP_1) | instid1(SALU_CYCLE_1)
	s_cmpk_lg_i32 s37, 0x2710
	s_cselect_b32 s38, -1, 0
	s_and_b32 vcc_lo, exec_lo, s38
	s_cbranch_vccz .LBB6_1205
.LBB6_1202:                             ;   in Loop: Header=BB6_1201 Depth=3
	s_and_not1_b32 s36, s36, exec_lo
	s_and_b32 s39, s39, exec_lo
	s_mov_b32 vcc_lo, -1
	s_or_b32 s36, s36, s39
	s_and_saveexec_b32 s39, s38
	s_cbranch_execz .LBB6_1200
; %bb.1203:                             ;   in Loop: Header=BB6_1201 Depth=3
	s_sleep 1
	s_cbranch_execnz .LBB6_1788
; %bb.1204:                             ;   in Loop: Header=BB6_1201 Depth=3
	ds_load_b64 v[38:39], v0
	s_and_not1_b32 s36, s36, exec_lo
	s_waitcnt lgkmcnt(0)
	v_cmp_ge_u64_e32 vcc_lo, v[38:39], v[12:13]
	s_or_not1_b32 vcc_lo, vcc_lo, exec_lo
	s_branch .LBB6_1200
.LBB6_1205:                             ;   in Loop: Header=BB6_1201 Depth=3
	s_cbranch_execnz .LBB6_1804
; %bb.1206:                             ;   in Loop: Header=BB6_1201 Depth=3
	ds_load_b64 v[38:39], v0
	s_and_not1_b32 s38, s38, exec_lo
	s_mov_b32 s37, 0
	s_mov_b32 s39, -1
	s_waitcnt lgkmcnt(0)
	flat_load_b32 v2, v[38:39] glc
	s_waitcnt vmcnt(0) lgkmcnt(0)
	buffer_gl1_inv
	buffer_gl0_inv
	v_cmp_eq_u32_e32 vcc_lo, 0, v2
	s_and_b32 vcc_lo, vcc_lo, exec_lo
	s_delay_alu instid0(SALU_CYCLE_1)
	s_or_b32 s38, s38, vcc_lo
	s_branch .LBB6_1202
.LBB6_1207:                             ;   in Loop: Header=BB6_1165 Depth=2
	s_or_b32 exec_lo, exec_lo, s28
	s_and_saveexec_b32 s28, s35
	s_delay_alu instid0(SALU_CYCLE_1)
	s_xor_b32 s28, exec_lo, s28
	s_cbranch_execz .LBB6_1209
; %bb.1208:                             ;   in Loop: Header=BB6_1165 Depth=2
	ds_store_b32 v0, v130
	s_cbranch_execnz .LBB6_1924
.LBB6_1209:                             ;   in Loop: Header=BB6_1165 Depth=2
	s_or_b32 exec_lo, exec_lo, s20
	;;#ASMSTART
	s_wakeup
	;;#ASMEND
.LBB6_1210:                             ;   in Loop: Header=BB6_1165 Depth=2
	s_or_b32 exec_lo, exec_lo, s14
.LBB6_1211:                             ;   in Loop: Header=BB6_1165 Depth=2
	s_and_not1_saveexec_b32 s13, s13
	s_cbranch_execz .LBB6_1213
; %bb.1212:                             ;   in Loop: Header=BB6_1165 Depth=2
	s_waitcnt lgkmcnt(0)
	s_waitcnt_vscnt null, 0x0
	buffer_gl1_inv
	buffer_gl0_inv
	s_barrier
.LBB6_1213:                             ;   in Loop: Header=BB6_1165 Depth=2
	s_or_b32 exec_lo, exec_lo, s13
.LBB6_1214:                             ;   in Loop: Header=BB6_1165 Depth=2
	s_delay_alu instid0(SALU_CYCLE_1)
	s_or_b32 exec_lo, exec_lo, s6
	s_cbranch_execnz .LBB6_1574
; %bb.1215:                             ;   in Loop: Header=BB6_1165 Depth=2
	ds_load_b32 v38, v0
	v_and_b32_e32 v2, 0x4000, v30
	s_xor_b32 s6, s2, -1
	s_delay_alu instid0(VALU_DEP_1) | instskip(SKIP_1) | instid1(SALU_CYCLE_1)
	v_cmp_ne_u32_e32 vcc_lo, 0, v2
	s_and_b32 s13, s6, vcc_lo
	s_and_saveexec_b32 s6, s13
	s_cbranch_execz .LBB6_1237
; %bb.1216:                             ;   in Loop: Header=BB6_1165 Depth=2
	s_and_saveexec_b32 s13, s4
	s_delay_alu instid0(SALU_CYCLE_1)
	s_xor_b32 s13, exec_lo, s13
	s_cbranch_execz .LBB6_1234
; %bb.1217:                             ;   in Loop: Header=BB6_1165 Depth=2
	s_and_saveexec_b32 s14, s1
	s_cbranch_execz .LBB6_1233
; %bb.1218:                             ;   in Loop: Header=BB6_1165 Depth=2
	s_mov_b32 s28, exec_lo
	s_mov_b32 s20, exec_lo
	v_mbcnt_lo_u32_b32 v2, s28, 0
	s_waitcnt lgkmcnt(0)
	s_waitcnt_vscnt null, 0x0
	buffer_gl1_inv
	buffer_gl0_inv
	v_cmpx_eq_u32_e32 0, v2
	s_cbranch_execz .LBB6_1220
; %bb.1219:                             ;   in Loop: Header=BB6_1165 Depth=2
	s_bcnt1_i32_b32 s28, s28
	s_delay_alu instid0(SALU_CYCLE_1)
	v_mov_b32_e32 v2, s28
	ds_add_u64 v0, v[2:3]
	s_cbranch_execnz .LBB6_1780
.LBB6_1220:                             ;   in Loop: Header=BB6_1165 Depth=2
	s_or_b32 exec_lo, exec_lo, s20
	s_cbranch_execnz .LBB6_1760
; %bb.1221:                             ;   in Loop: Header=BB6_1165 Depth=2
	ds_load_b64 v[48:49], v0
	v_add_co_u32 v12, vcc_lo, v12, v83
	v_add_co_ci_u32_e32 v13, vcc_lo, 0, v13, vcc_lo
	s_mov_b32 s20, exec_lo
	s_waitcnt lgkmcnt(0)
	s_delay_alu instid0(VALU_DEP_1)
	v_cmpx_lt_u64_e64 v[48:49], v[12:13]
	s_cbranch_execz .LBB6_1232
; %bb.1222:                             ;   in Loop: Header=BB6_1165 Depth=2
	s_mov_b32 s28, 0
	s_mov_b32 s37, 0
                                        ; implicit-def: $sgpr35
                                        ; implicit-def: $sgpr36
	s_branch .LBB6_1224
.LBB6_1223:                             ;   in Loop: Header=BB6_1224 Depth=3
	s_or_b32 exec_lo, exec_lo, s39
	s_delay_alu instid0(SALU_CYCLE_1) | instskip(NEXT) | instid1(SALU_CYCLE_1)
	s_and_b32 vcc_lo, exec_lo, vcc_lo
	s_or_b32 s28, vcc_lo, s28
	s_and_not1_b32 vcc_lo, s35, exec_lo
	s_and_b32 s35, s36, exec_lo
	s_delay_alu instid0(SALU_CYCLE_1)
	s_or_b32 s35, vcc_lo, s35
	s_and_not1_b32 exec_lo, exec_lo, s28
	s_cbranch_execz .LBB6_1230
.LBB6_1224:                             ;   Parent Loop BB6_51 Depth=1
                                        ;     Parent Loop BB6_1165 Depth=2
                                        ; =>    This Inner Loop Header: Depth=3
	s_add_i32 s37, s37, 1
                                        ; implicit-def: $sgpr39
	s_delay_alu instid0(SALU_CYCLE_1) | instskip(SKIP_1) | instid1(SALU_CYCLE_1)
	s_cmpk_lg_i32 s37, 0x2710
	s_cselect_b32 s38, -1, 0
	s_and_b32 vcc_lo, exec_lo, s38
	s_cbranch_vccz .LBB6_1228
.LBB6_1225:                             ;   in Loop: Header=BB6_1224 Depth=3
	s_and_not1_b32 s36, s36, exec_lo
	s_and_b32 s39, s39, exec_lo
	s_mov_b32 vcc_lo, -1
	s_or_b32 s36, s36, s39
	s_and_saveexec_b32 s39, s38
	s_cbranch_execz .LBB6_1223
; %bb.1226:                             ;   in Loop: Header=BB6_1224 Depth=3
	s_sleep 1
	s_cbranch_execnz .LBB6_1842
; %bb.1227:                             ;   in Loop: Header=BB6_1224 Depth=3
	ds_load_b64 v[48:49], v0
	s_and_not1_b32 s36, s36, exec_lo
	s_waitcnt lgkmcnt(0)
	v_cmp_ge_u64_e32 vcc_lo, v[48:49], v[12:13]
	s_or_not1_b32 vcc_lo, vcc_lo, exec_lo
	s_branch .LBB6_1223
.LBB6_1228:                             ;   in Loop: Header=BB6_1224 Depth=3
	s_cbranch_execnz .LBB6_1854
; %bb.1229:                             ;   in Loop: Header=BB6_1224 Depth=3
	ds_load_b64 v[48:49], v0
	s_and_not1_b32 s38, s38, exec_lo
	s_mov_b32 s37, 0
	s_mov_b32 s39, -1
	s_waitcnt lgkmcnt(0)
	flat_load_b32 v2, v[48:49] glc
	s_waitcnt vmcnt(0) lgkmcnt(0)
	buffer_gl1_inv
	buffer_gl0_inv
	v_cmp_eq_u32_e32 vcc_lo, 0, v2
	s_and_b32 vcc_lo, vcc_lo, exec_lo
	s_delay_alu instid0(SALU_CYCLE_1)
	s_or_b32 s38, s38, vcc_lo
	s_branch .LBB6_1225
.LBB6_1230:                             ;   in Loop: Header=BB6_1165 Depth=2
	s_or_b32 exec_lo, exec_lo, s28
	s_and_saveexec_b32 s28, s35
	s_delay_alu instid0(SALU_CYCLE_1)
	s_xor_b32 s28, exec_lo, s28
	s_cbranch_execz .LBB6_1232
; %bb.1231:                             ;   in Loop: Header=BB6_1165 Depth=2
	ds_store_b32 v0, v130
	s_cbranch_execnz .LBB6_1940
.LBB6_1232:                             ;   in Loop: Header=BB6_1165 Depth=2
	s_or_b32 exec_lo, exec_lo, s20
	;;#ASMSTART
	s_wakeup
	;;#ASMEND
.LBB6_1233:                             ;   in Loop: Header=BB6_1165 Depth=2
	s_or_b32 exec_lo, exec_lo, s14
.LBB6_1234:                             ;   in Loop: Header=BB6_1165 Depth=2
	s_and_not1_saveexec_b32 s13, s13
	s_cbranch_execz .LBB6_1236
; %bb.1235:                             ;   in Loop: Header=BB6_1165 Depth=2
	s_waitcnt lgkmcnt(0)
	s_waitcnt_vscnt null, 0x0
	buffer_gl1_inv
	buffer_gl0_inv
	s_barrier
.LBB6_1236:                             ;   in Loop: Header=BB6_1165 Depth=2
	s_or_b32 exec_lo, exec_lo, s13
.LBB6_1237:                             ;   in Loop: Header=BB6_1165 Depth=2
	s_delay_alu instid0(SALU_CYCLE_1)
	s_or_b32 exec_lo, exec_lo, s6
	s_cbranch_execnz .LBB6_1632
; %bb.1238:                             ;   in Loop: Header=BB6_1165 Depth=2
	ds_load_b64 v[48:49], v0
	v_sub_nc_u32_e32 v2, v50, v8
	v_mov_b32_e32 v9, 0
	s_delay_alu instid0(VALU_DEP_2) | instskip(SKIP_3) | instid1(SALU_CYCLE_1)
	v_min_i32_e32 v51, v51, v2
	s_waitcnt lgkmcnt(0)
	v_cmp_eq_u64_e32 vcc_lo, 0, v[48:49]
	s_or_b32 s6, vcc_lo, vcc_lo
	s_and_b32 vcc_lo, exec_lo, s6
	s_cbranch_vccnz .LBB6_1273
; %bb.1239:                             ;   in Loop: Header=BB6_1165 Depth=2
	s_mov_b32 s6, -1
	s_and_saveexec_b32 s13, vcc_hi
	s_cbranch_execz .LBB6_1241
; %bb.1240:                             ;   in Loop: Header=BB6_1165 Depth=2
	ds_load_b32 v2, v0 offset:720
	s_waitcnt lgkmcnt(0)
	v_and_b32_e32 v2, 15, v2
	s_delay_alu instid0(VALU_DEP_1)
	v_cmp_eq_u32_e32 vcc_lo, 0, v2
	s_or_not1_b32 s6, vcc_lo, exec_lo
.LBB6_1241:                             ;   in Loop: Header=BB6_1165 Depth=2
	s_or_b32 exec_lo, exec_lo, s13
	s_and_saveexec_b32 s13, s5
	s_cbranch_execz .LBB6_1243
; %bb.1242:                             ;   in Loop: Header=BB6_1165 Depth=2
	ds_load_b32 v2, v0 offset:784
	s_waitcnt lgkmcnt(0)
	v_and_b32_e32 v2, 15, v2
	s_delay_alu instid0(VALU_DEP_1) | instskip(SKIP_3) | instid1(SALU_CYCLE_1)
	v_cmp_eq_u32_e32 vcc_lo, 0, v2
	s_and_b32 s14, s6, vcc_lo
	s_and_not1_b32 s6, s6, exec_lo
	s_and_b32 s14, s14, exec_lo
	s_or_b32 s6, s6, s14
.LBB6_1243:                             ;   in Loop: Header=BB6_1165 Depth=2
	s_or_b32 exec_lo, exec_lo, s13
	v_cmp_eq_u32_e32 vcc_lo, 0, v38
	s_xor_b32 s6, s6, -1
	s_mov_b32 s13, -1
	v_cndmask_b32_e64 v2, 0, 1, s6
	;;#ASMSTART
	;;#ASMEND
	v_dual_cndmask_b32 v9, 0, v51 :: v_dual_mov_b32 v52, 0
	s_delay_alu instid0(VALU_DEP_2) | instskip(NEXT) | instid1(VALU_DEP_2)
	v_cmp_ne_u32_e32 vcc_lo, 0, v2
	v_lshlrev_b32_e32 v2, 3, v9
	s_cbranch_vccz .LBB6_1245
; %bb.1244:                             ;   in Loop: Header=BB6_1165 Depth=2
	v_mov_b32_e32 v53, v0
	v_mov_b32_e32 v64, v84
	s_branch .LBB6_1260
.LBB6_1245:                             ;   in Loop: Header=BB6_1165 Depth=2
	s_delay_alu instid0(VALU_DEP_1) | instskip(SKIP_1) | instid1(VALU_DEP_1)
	v_ashrrev_i32_e32 v38, 31, v2
	s_mov_b32 s6, exec_lo
	v_lshrrev_b32_e32 v38, 20, v38
	s_delay_alu instid0(VALU_DEP_1) | instskip(NEXT) | instid1(VALU_DEP_1)
	v_add_nc_u32_e32 v38, v2, v38
	v_ashrrev_i32_e32 v52, 12, v38
	s_delay_alu instid0(VALU_DEP_1) | instskip(NEXT) | instid1(VALU_DEP_1)
	v_sub_nc_u32_e32 v54, v52, v84
	v_cmpx_lt_i32_e32 0, v54
	s_cbranch_execz .LBB6_1250
; %bb.1246:                             ;   in Loop: Header=BB6_1165 Depth=2
	s_cbranch_execnz .LBB6_1808
; %bb.1247:                             ;   in Loop: Header=BB6_1165 Depth=2
	ds_load_b64 v[38:39], v0
	s_mov_b32 s13, 0
	s_waitcnt lgkmcnt(0)
	v_dual_mov_b32 v49, v39 :: v_dual_mov_b32 v48, v38
.LBB6_1248:                             ;   Parent Loop BB6_51 Depth=1
                                        ;     Parent Loop BB6_1165 Depth=2
                                        ; =>    This Inner Loop Header: Depth=3
	s_delay_alu instid0(VALU_DEP_1) | instskip(NEXT) | instid1(VALU_DEP_2)
	v_add_co_u32 v176, vcc_lo, v86, v48
	v_add_co_ci_u32_e32 v177, vcc_lo, v96, v49, vcc_lo
	v_add_co_u32 v180, vcc_lo, v86, v38
	v_add_co_ci_u32_e32 v181, vcc_lo, v96, v39, vcc_lo
	s_clause 0x7
	global_load_b128 v[64:67], v[176:177], off slc dlc
	global_load_b128 v[68:71], v[176:177], off offset:512 slc dlc
	global_load_b128 v[131:134], v[176:177], off offset:1024 slc dlc
	;; [unrolled: 1-line block ×7, first 2 shown]
	v_add_co_u32 v48, vcc_lo, v48, v98
	v_sub_nc_u32_e32 v54, v54, v83
	v_add_co_ci_u32_e32 v49, vcc_lo, v49, v99, vcc_lo
	v_add_co_u32 v38, vcc_lo, v38, v98
	v_add_co_ci_u32_e32 v39, vcc_lo, v39, v99, vcc_lo
	s_delay_alu instid0(VALU_DEP_4)
	v_cmp_gt_i32_e32 vcc_lo, 1, v54
	s_waitcnt vmcnt(7)
	global_store_b128 v[180:181], v[64:67], off glc slc dlc
	s_waitcnt vmcnt(6)
	global_store_b128 v[180:181], v[68:71], off offset:512 glc slc dlc
	s_waitcnt vmcnt(5)
	global_store_b128 v[180:181], v[131:134], off offset:1024 glc slc dlc
	;; [unrolled: 2-line block ×7, first 2 shown]
	s_or_b32 s13, vcc_lo, s13
	s_delay_alu instid0(SALU_CYCLE_1)
	s_and_not1_b32 exec_lo, exec_lo, s13
	s_cbranch_execnz .LBB6_1248
; %bb.1249:                             ;   in Loop: Header=BB6_1165 Depth=2
	s_or_b32 exec_lo, exec_lo, s13
.LBB6_1250:                             ;   in Loop: Header=BB6_1165 Depth=2
	s_delay_alu instid0(SALU_CYCLE_1) | instskip(SKIP_4) | instid1(VALU_DEP_2)
	s_or_b32 exec_lo, exec_lo, s6
	v_lshlrev_b32_e32 v48, 12, v52
	v_mov_b32_e32 v52, 0
	s_mov_b32 s13, 0
	s_mov_b32 s6, exec_lo
                                        ; implicit-def: $vgpr53
                                        ; implicit-def: $vgpr64
	v_cmpx_ne_u32_e64 v2, v48
	s_cbranch_execz .LBB6_1259
; %bb.1251:                             ;   in Loop: Header=BB6_1165 Depth=2
	v_lshlrev_b32_e32 v38, 5, v54
	v_sub_nc_u32_e32 v52, v2, v48
	s_mov_b32 s20, exec_lo
	s_delay_alu instid0(VALU_DEP_2) | instskip(NEXT) | instid1(VALU_DEP_2)
	v_sub_nc_u32_e32 v38, v85, v38
	v_ashrrev_i32_e32 v49, 31, v52
	s_delay_alu instid0(VALU_DEP_2) | instskip(NEXT) | instid1(VALU_DEP_2)
	v_ashrrev_i32_e32 v39, 31, v38
	v_lshrrev_b32_e32 v49, 23, v49
	s_delay_alu instid0(VALU_DEP_2) | instskip(NEXT) | instid1(VALU_DEP_2)
	v_lshrrev_b32_e32 v39, 27, v39
	v_add_nc_u32_e32 v64, v52, v49
	s_delay_alu instid0(VALU_DEP_2) | instskip(NEXT) | instid1(VALU_DEP_2)
	v_add_nc_u32_e32 v39, v38, v39
	v_and_b32_e32 v49, 0xfffffe00, v64
	v_ashrrev_i32_e32 v64, 9, v64
	s_delay_alu instid0(VALU_DEP_3) | instskip(NEXT) | instid1(VALU_DEP_3)
	v_and_b32_e32 v53, 0xffffffe0, v39
	v_sub_nc_u32_e32 v55, v52, v49
	s_delay_alu instid0(VALU_DEP_2) | instskip(SKIP_1) | instid1(VALU_DEP_3)
	v_sub_nc_u32_e32 v54, v38, v53
	v_ashrrev_i32_e32 v38, 5, v39
	v_cmp_lt_i32_e32 vcc_lo, 15, v55
	s_delay_alu instid0(VALU_DEP_3) | instskip(NEXT) | instid1(VALU_DEP_1)
	v_lshlrev_b32_e32 v39, 4, v54
	v_lshl_add_u32 v53, v38, 9, v39
	v_add_co_ci_u32_e64 v39, s13, 0, v64, vcc_lo
	s_delay_alu instid0(VALU_DEP_2) | instskip(NEXT) | instid1(VALU_DEP_2)
	v_sub_nc_u32_e32 v52, v52, v53
	v_sub_nc_u32_e32 v65, v39, v38
	s_delay_alu instid0(VALU_DEP_2)
	v_cmpx_lt_i32_e32 15, v52
	s_cbranch_execz .LBB6_1256
; %bb.1252:                             ;   in Loop: Header=BB6_1165 Depth=2
	s_cbranch_execnz .LBB6_1866
; %bb.1253:                             ;   in Loop: Header=BB6_1165 Depth=2
	ds_load_b64 v[38:39], v0
	v_add_nc_u32_e32 v53, v53, v48
	s_mov_b32 s28, 0
	s_delay_alu instid0(VALU_DEP_1)
	v_ashrrev_i32_e32 v64, 31, v53
.LBB6_1254:                             ;   Parent Loop BB6_51 Depth=1
                                        ;     Parent Loop BB6_1165 Depth=2
                                        ; =>    This Inner Loop Header: Depth=3
	s_waitcnt lgkmcnt(0)
	v_add_co_u32 v70, s13, v38, v53
	s_delay_alu instid0(VALU_DEP_1)
	v_add_co_ci_u32_e64 v71, s13, v39, v64, s13
	v_sub_nc_u32_e32 v52, v52, v87
	v_add_co_u32 v53, s14, v53, v102
	global_load_b128 v[66:69], v[70:71], off slc dlc
	v_sub_nc_u32_e32 v65, v65, v83
	v_cmp_gt_i32_e64 s13, 16, v52
	v_add_co_ci_u32_e64 v64, s14, v64, v103, s14
	s_delay_alu instid0(VALU_DEP_2)
	s_or_b32 s28, s13, s28
	s_waitcnt vmcnt(0)
	global_store_b128 v[70:71], v[66:69], off glc slc dlc
	s_and_not1_b32 exec_lo, exec_lo, s28
	s_cbranch_execnz .LBB6_1254
; %bb.1255:                             ;   in Loop: Header=BB6_1165 Depth=2
	s_or_b32 exec_lo, exec_lo, s28
.LBB6_1256:                             ;   in Loop: Header=BB6_1165 Depth=2
	s_delay_alu instid0(SALU_CYCLE_1) | instskip(SKIP_4) | instid1(VALU_DEP_2)
	s_or_b32 exec_lo, exec_lo, s20
	v_and_b32_e32 v38, 8, v2
	v_mov_b32_e32 v52, 0
	s_mov_b32 s14, 0
	s_mov_b32 s20, exec_lo
                                        ; implicit-def: $vgpr53
                                        ; implicit-def: $vgpr64
	v_cndmask_b32_e32 v2, v55, v38, vcc_lo
	s_delay_alu instid0(VALU_DEP_1)
	v_cmpx_ne_u32_e32 0, v2
; %bb.1257:                             ;   in Loop: Header=BB6_1165 Depth=2
	v_cmp_lt_i32_e64 s13, 0, v65
	v_sub_nc_u32_e32 v38, v55, v38
	s_mov_b32 s14, exec_lo
	s_delay_alu instid0(VALU_DEP_2) | instskip(NEXT) | instid1(VALU_DEP_1)
	v_cndmask_b32_e64 v39, 0, v83, s13
	v_sub_nc_u32_e32 v39, v39, v65
	s_delay_alu instid0(VALU_DEP_1) | instskip(NEXT) | instid1(VALU_DEP_1)
	v_lshl_add_u32 v53, v39, 5, v54
	v_ashrrev_i32_e32 v39, 31, v53
	s_delay_alu instid0(VALU_DEP_1) | instskip(NEXT) | instid1(VALU_DEP_1)
	v_lshrrev_b32_e32 v39, 27, v39
	v_dual_cndmask_b32 v38, 0, v38 :: v_dual_add_nc_u32 v39, v53, v39
	s_delay_alu instid0(VALU_DEP_1) | instskip(NEXT) | instid1(VALU_DEP_2)
	v_add3_u32 v52, v49, v48, v38
	v_ashrrev_i32_e32 v64, 5, v39
; %bb.1258:                             ;   in Loop: Header=BB6_1165 Depth=2
	s_or_b32 exec_lo, exec_lo, s20
	s_delay_alu instid0(SALU_CYCLE_1)
	s_and_b32 s13, s14, exec_lo
.LBB6_1259:                             ;   in Loop: Header=BB6_1165 Depth=2
	s_or_b32 exec_lo, exec_lo, s6
.LBB6_1260:                             ;   in Loop: Header=BB6_1165 Depth=2
	s_and_saveexec_b32 s6, s13
	s_cbranch_execz .LBB6_1272
; %bb.1261:                             ;   in Loop: Header=BB6_1165 Depth=2
	v_ashrrev_i32_e32 v38, 31, v2
	s_mov_b32 s14, exec_lo
	s_delay_alu instid0(VALU_DEP_1) | instskip(NEXT) | instid1(VALU_DEP_1)
	v_lshrrev_b32_e32 v38, 22, v38
	v_add_nc_u32_e32 v38, v2, v38
	s_delay_alu instid0(VALU_DEP_1) | instskip(NEXT) | instid1(VALU_DEP_1)
	v_ashrrev_i32_e32 v55, 10, v38
	v_sub_nc_u32_e32 v54, v55, v64
	s_delay_alu instid0(VALU_DEP_1)
	v_cmpx_lt_i32_e32 0, v54
	s_cbranch_execz .LBB6_1266
; %bb.1262:                             ;   in Loop: Header=BB6_1165 Depth=2
	s_cbranch_execnz .LBB6_1800
; %bb.1263:                             ;   in Loop: Header=BB6_1165 Depth=2
	v_ashrrev_i32_e32 v38, 31, v53
	s_mov_b32 s20, 0
	s_delay_alu instid0(VALU_DEP_1) | instskip(NEXT) | instid1(VALU_DEP_1)
	v_lshrrev_b32_e32 v38, 27, v38
	v_add_nc_u32_e32 v38, v53, v38
	s_delay_alu instid0(VALU_DEP_1) | instskip(SKIP_3) | instid1(VALU_DEP_1)
	v_and_b32_e32 v48, 0x1fffffe0, v38
	ds_load_b64 v[38:39], v0
	v_lshlrev_b32_e32 v49, 10, v64
	v_sub_nc_u32_e32 v48, v53, v48
	v_lshlrev_b32_e32 v48, 3, v48
	s_delay_alu instid0(VALU_DEP_1) | instskip(NEXT) | instid1(VALU_DEP_1)
	v_add3_u32 v64, v48, v52, v49
	v_ashrrev_i32_e32 v65, 31, v64
	s_waitcnt lgkmcnt(0)
	v_dual_mov_b32 v49, v39 :: v_dual_mov_b32 v48, v38
	s_set_inst_prefetch_distance 0x1
.LBB6_1264:                             ;   Parent Loop BB6_51 Depth=1
                                        ;     Parent Loop BB6_1165 Depth=2
                                        ; =>    This Inner Loop Header: Depth=3
	s_delay_alu instid0(VALU_DEP_1) | instskip(NEXT) | instid1(VALU_DEP_2)
	v_add_co_u32 v66, vcc_lo, v64, v48
	v_add_co_ci_u32_e32 v67, vcc_lo, v65, v49, vcc_lo
	v_add_co_u32 v133, vcc_lo, v64, v38
	v_sub_nc_u32_e32 v54, v54, v83
	s_clause 0x3
	flat_load_b64 v[68:69], v[66:67] slc dlc
	flat_load_b64 v[70:71], v[66:67] offset:256 slc dlc
	flat_load_b64 v[131:132], v[66:67] offset:512 slc dlc
	flat_load_b64 v[66:67], v[66:67] offset:768 slc dlc
	v_add_co_ci_u32_e32 v134, vcc_lo, v65, v39, vcc_lo
	v_add_co_u32 v48, vcc_lo, v48, v113
	v_add_co_ci_u32_e32 v49, vcc_lo, v49, v114, vcc_lo
	v_add_co_u32 v38, vcc_lo, v38, v113
	v_cmp_gt_i32_e64 s13, 1, v54
	v_add_co_ci_u32_e32 v39, vcc_lo, v39, v114, vcc_lo
	s_waitcnt vmcnt(3) lgkmcnt(3)
	flat_store_b64 v[133:134], v[68:69] glc slc dlc
	s_waitcnt vmcnt(2) lgkmcnt(3)
	flat_store_b64 v[133:134], v[70:71] offset:256 glc slc dlc
	s_waitcnt vmcnt(1) lgkmcnt(3)
	flat_store_b64 v[133:134], v[131:132] offset:512 glc slc dlc
	;; [unrolled: 2-line block ×3, first 2 shown]
	s_or_b32 s20, s13, s20
	s_delay_alu instid0(SALU_CYCLE_1)
	s_and_not1_b32 exec_lo, exec_lo, s20
	s_cbranch_execnz .LBB6_1264
; %bb.1265:                             ;   in Loop: Header=BB6_1165 Depth=2
	s_set_inst_prefetch_distance 0x2
	s_or_b32 exec_lo, exec_lo, s20
.LBB6_1266:                             ;   in Loop: Header=BB6_1165 Depth=2
	s_delay_alu instid0(SALU_CYCLE_1) | instskip(SKIP_2) | instid1(VALU_DEP_1)
	s_or_b32 exec_lo, exec_lo, s14
	v_lshlrev_b32_e32 v38, 10, v55
	s_mov_b32 s14, exec_lo
	v_cmpx_ne_u32_e64 v2, v38
	s_cbranch_execz .LBB6_1271
; %bb.1267:                             ;   in Loop: Header=BB6_1165 Depth=2
	v_ashrrev_i32_e32 v39, 31, v53
	v_lshlrev_b32_e32 v48, 5, v54
	s_delay_alu instid0(VALU_DEP_2) | instskip(NEXT) | instid1(VALU_DEP_1)
	v_lshrrev_b32_e32 v39, 27, v39
	v_add_nc_u32_e32 v39, v53, v39
	s_delay_alu instid0(VALU_DEP_1) | instskip(NEXT) | instid1(VALU_DEP_1)
	v_and_b32_e32 v39, 0xffffffe0, v39
	v_sub_nc_u32_e32 v39, v53, v39
	s_delay_alu instid0(VALU_DEP_1) | instskip(NEXT) | instid1(VALU_DEP_1)
	v_sub_nc_u32_e32 v39, v39, v48
	v_ashrrev_i32_e32 v48, 31, v39
	s_delay_alu instid0(VALU_DEP_1) | instskip(NEXT) | instid1(VALU_DEP_1)
	v_lshrrev_b32_e32 v48, 27, v48
	v_add_nc_u32_e32 v48, v39, v48
	s_delay_alu instid0(VALU_DEP_1) | instskip(SKIP_1) | instid1(VALU_DEP_2)
	v_and_b32_e32 v49, 0x1fffffe0, v48
	v_lshlrev_b32_e32 v48, 3, v48
	v_sub_nc_u32_e32 v39, v39, v49
	s_delay_alu instid0(VALU_DEP_2) | instskip(NEXT) | instid1(VALU_DEP_2)
	v_and_b32_e32 v48, 0xffffff00, v48
	v_lshlrev_b32_e32 v39, 3, v39
	s_delay_alu instid0(VALU_DEP_1) | instskip(NEXT) | instid1(VALU_DEP_1)
	v_add3_u32 v48, v48, v39, v38
	v_sub_nc_u32_e32 v2, v2, v48
	s_delay_alu instid0(VALU_DEP_1)
	v_cmp_lt_i32_e32 vcc_lo, 7, v2
	s_and_b32 exec_lo, exec_lo, vcc_lo
	s_cbranch_execz .LBB6_1271
; %bb.1268:                             ;   in Loop: Header=BB6_1165 Depth=2
	s_cbranch_execnz .LBB6_1860
; %bb.1269:                             ;   in Loop: Header=BB6_1165 Depth=2
	ds_load_b64 v[38:39], v0
	v_add_nc_u32_e32 v48, v48, v52
	s_mov_b32 s20, 0
	s_delay_alu instid0(VALU_DEP_1)
	v_ashrrev_i32_e32 v49, 31, v48
.LBB6_1270:                             ;   Parent Loop BB6_51 Depth=1
                                        ;     Parent Loop BB6_1165 Depth=2
                                        ; =>    This Inner Loop Header: Depth=3
	s_waitcnt lgkmcnt(0)
	v_add_co_u32 v52, vcc_lo, v38, v48
	s_delay_alu instid0(VALU_DEP_2)
	v_add_co_ci_u32_e32 v53, vcc_lo, v39, v49, vcc_lo
	v_sub_nc_u32_e32 v2, v2, v101
	v_add_co_u32 v48, s13, v48, v116
	flat_load_b64 v[54:55], v[52:53] slc dlc
	v_add_co_ci_u32_e64 v49, s13, v49, v117, s13
	v_cmp_gt_i32_e32 vcc_lo, 8, v2
	s_or_b32 s20, vcc_lo, s20
	s_waitcnt vmcnt(0) lgkmcnt(0)
	flat_store_b64 v[52:53], v[54:55] glc slc dlc
	s_and_not1_b32 exec_lo, exec_lo, s20
	s_cbranch_execnz .LBB6_1270
.LBB6_1271:                             ;   in Loop: Header=BB6_1165 Depth=2
	s_or_b32 exec_lo, exec_lo, s14
.LBB6_1272:                             ;   in Loop: Header=BB6_1165 Depth=2
	s_delay_alu instid0(SALU_CYCLE_1)
	s_or_b32 exec_lo, exec_lo, s6
.LBB6_1273:                             ;   in Loop: Header=BB6_1165 Depth=2
	s_and_saveexec_b32 s6, s3
	s_cbranch_execz .LBB6_1295
; %bb.1274:                             ;   in Loop: Header=BB6_1165 Depth=2
	s_and_saveexec_b32 s13, s4
	s_delay_alu instid0(SALU_CYCLE_1)
	s_xor_b32 s13, exec_lo, s13
	s_cbranch_execz .LBB6_1292
; %bb.1275:                             ;   in Loop: Header=BB6_1165 Depth=2
	s_and_saveexec_b32 s14, s1
	s_cbranch_execz .LBB6_1291
; %bb.1276:                             ;   in Loop: Header=BB6_1165 Depth=2
	s_mov_b32 s28, exec_lo
	s_mov_b32 s20, exec_lo
	v_mbcnt_lo_u32_b32 v2, s28, 0
	s_waitcnt lgkmcnt(0)
	s_waitcnt_vscnt null, 0x0
	buffer_gl1_inv
	buffer_gl0_inv
	v_cmpx_eq_u32_e32 0, v2
	s_cbranch_execz .LBB6_1278
; %bb.1277:                             ;   in Loop: Header=BB6_1165 Depth=2
	s_bcnt1_i32_b32 s28, s28
	s_delay_alu instid0(SALU_CYCLE_1)
	v_mov_b32_e32 v2, s28
	ds_add_u64 v0, v[2:3]
	s_cbranch_execnz .LBB6_1846
.LBB6_1278:                             ;   in Loop: Header=BB6_1165 Depth=2
	s_or_b32 exec_lo, exec_lo, s20
	s_cbranch_execnz .LBB6_1822
; %bb.1279:                             ;   in Loop: Header=BB6_1165 Depth=2
	ds_load_b64 v[38:39], v0
	v_add_co_u32 v12, vcc_lo, v12, v83
	v_add_co_ci_u32_e32 v13, vcc_lo, 0, v13, vcc_lo
	s_mov_b32 s20, exec_lo
	s_waitcnt lgkmcnt(0)
	s_delay_alu instid0(VALU_DEP_1)
	v_cmpx_lt_u64_e64 v[38:39], v[12:13]
	s_cbranch_execz .LBB6_1290
; %bb.1280:                             ;   in Loop: Header=BB6_1165 Depth=2
	s_mov_b32 s28, 0
	s_mov_b32 s37, 0
                                        ; implicit-def: $sgpr35
                                        ; implicit-def: $sgpr36
	s_branch .LBB6_1282
.LBB6_1281:                             ;   in Loop: Header=BB6_1282 Depth=3
	s_or_b32 exec_lo, exec_lo, s39
	s_delay_alu instid0(SALU_CYCLE_1) | instskip(NEXT) | instid1(SALU_CYCLE_1)
	s_and_b32 vcc_lo, exec_lo, vcc_lo
	s_or_b32 s28, vcc_lo, s28
	s_and_not1_b32 vcc_lo, s35, exec_lo
	s_and_b32 s35, s36, exec_lo
	s_delay_alu instid0(SALU_CYCLE_1)
	s_or_b32 s35, vcc_lo, s35
	s_and_not1_b32 exec_lo, exec_lo, s28
	s_cbranch_execz .LBB6_1288
.LBB6_1282:                             ;   Parent Loop BB6_51 Depth=1
                                        ;     Parent Loop BB6_1165 Depth=2
                                        ; =>    This Inner Loop Header: Depth=3
	s_add_i32 s37, s37, 1
                                        ; implicit-def: $sgpr39
	s_delay_alu instid0(SALU_CYCLE_1) | instskip(SKIP_1) | instid1(SALU_CYCLE_1)
	s_cmpk_lg_i32 s37, 0x2710
	s_cselect_b32 s38, -1, 0
	s_and_b32 vcc_lo, exec_lo, s38
	s_cbranch_vccz .LBB6_1286
.LBB6_1283:                             ;   in Loop: Header=BB6_1282 Depth=3
	s_and_not1_b32 s36, s36, exec_lo
	s_and_b32 s39, s39, exec_lo
	s_mov_b32 vcc_lo, -1
	s_or_b32 s36, s36, s39
	s_and_saveexec_b32 s39, s38
	s_cbranch_execz .LBB6_1281
; %bb.1284:                             ;   in Loop: Header=BB6_1282 Depth=3
	s_sleep 1
	s_cbranch_execnz .LBB6_1878
; %bb.1285:                             ;   in Loop: Header=BB6_1282 Depth=3
	ds_load_b64 v[38:39], v0
	s_and_not1_b32 s36, s36, exec_lo
	s_waitcnt lgkmcnt(0)
	v_cmp_ge_u64_e32 vcc_lo, v[38:39], v[12:13]
	s_or_not1_b32 vcc_lo, vcc_lo, exec_lo
	s_branch .LBB6_1281
.LBB6_1286:                             ;   in Loop: Header=BB6_1282 Depth=3
	s_cbranch_execnz .LBB6_1890
; %bb.1287:                             ;   in Loop: Header=BB6_1282 Depth=3
	ds_load_b64 v[38:39], v0
	s_and_not1_b32 s38, s38, exec_lo
	s_mov_b32 s37, 0
	s_mov_b32 s39, -1
	s_waitcnt lgkmcnt(0)
	flat_load_b32 v2, v[38:39] glc
	s_waitcnt vmcnt(0) lgkmcnt(0)
	buffer_gl1_inv
	buffer_gl0_inv
	v_cmp_eq_u32_e32 vcc_lo, 0, v2
	s_and_b32 vcc_lo, vcc_lo, exec_lo
	s_delay_alu instid0(SALU_CYCLE_1)
	s_or_b32 s38, s38, vcc_lo
	s_branch .LBB6_1283
.LBB6_1288:                             ;   in Loop: Header=BB6_1165 Depth=2
	s_or_b32 exec_lo, exec_lo, s28
	s_and_saveexec_b32 s28, s35
	s_delay_alu instid0(SALU_CYCLE_1)
	s_xor_b32 s28, exec_lo, s28
	s_cbranch_execz .LBB6_1290
; %bb.1289:                             ;   in Loop: Header=BB6_1165 Depth=2
	ds_store_b32 v0, v130
	s_cbranch_execnz .LBB6_1944
.LBB6_1290:                             ;   in Loop: Header=BB6_1165 Depth=2
	s_or_b32 exec_lo, exec_lo, s20
	;;#ASMSTART
	s_wakeup
	;;#ASMEND
.LBB6_1291:                             ;   in Loop: Header=BB6_1165 Depth=2
	s_or_b32 exec_lo, exec_lo, s14
.LBB6_1292:                             ;   in Loop: Header=BB6_1165 Depth=2
	s_and_not1_saveexec_b32 s13, s13
	s_cbranch_execz .LBB6_1294
; %bb.1293:                             ;   in Loop: Header=BB6_1165 Depth=2
	s_waitcnt lgkmcnt(0)
	s_waitcnt_vscnt null, 0x0
	buffer_gl1_inv
	buffer_gl0_inv
	s_barrier
.LBB6_1294:                             ;   in Loop: Header=BB6_1165 Depth=2
	s_or_b32 exec_lo, exec_lo, s13
.LBB6_1295:                             ;   in Loop: Header=BB6_1165 Depth=2
	s_delay_alu instid0(SALU_CYCLE_1) | instskip(SKIP_1) | instid1(SALU_CYCLE_1)
	s_or_b32 exec_lo, exec_lo, s6
	s_and_saveexec_b32 s6, s7
	s_xor_b32 s6, exec_lo, s6
	s_cbranch_execz .LBB6_1299
; %bb.1296:                             ;   in Loop: Header=BB6_1165 Depth=2
	v_and_b32_e32 v2, 16, v30
	v_cmp_lt_i32_e32 vcc_lo, 0, v9
	s_delay_alu instid0(VALU_DEP_2) | instskip(NEXT) | instid1(VALU_DEP_1)
	v_cmp_ne_u32_e64 s13, 0, v2
	s_and_b32 s14, s13, vcc_lo
	s_delay_alu instid0(SALU_CYCLE_1)
	s_and_saveexec_b32 s13, s14
	s_cbranch_execz .LBB6_1298
; %bb.1297:                             ;   in Loop: Header=BB6_1165 Depth=2
	s_waitcnt lgkmcnt(0)
	s_waitcnt_vscnt null, 0x0
	buffer_gl1_inv
	buffer_gl0_inv
.LBB6_1298:                             ;   in Loop: Header=BB6_1165 Depth=2
	s_or_b32 exec_lo, exec_lo, s13
.LBB6_1299:                             ;   in Loop: Header=BB6_1165 Depth=2
	s_and_not1_saveexec_b32 s6, s6
	s_cbranch_execz .LBB6_1321
; %bb.1300:                             ;   in Loop: Header=BB6_1165 Depth=2
	s_and_saveexec_b32 s13, s4
	s_delay_alu instid0(SALU_CYCLE_1)
	s_xor_b32 s13, exec_lo, s13
	s_cbranch_execz .LBB6_1318
; %bb.1301:                             ;   in Loop: Header=BB6_1165 Depth=2
	s_and_saveexec_b32 s14, s1
	s_cbranch_execz .LBB6_1317
; %bb.1302:                             ;   in Loop: Header=BB6_1165 Depth=2
	s_mov_b32 s28, exec_lo
	s_mov_b32 s20, exec_lo
	v_mbcnt_lo_u32_b32 v2, s28, 0
	;;#ASMSTART
	s_waitcnt lgkmcnt(0) vmcnt(0)
	;;#ASMEND
	s_delay_alu instid0(VALU_DEP_1)
	v_cmpx_eq_u32_e32 0, v2
	s_cbranch_execz .LBB6_1304
; %bb.1303:                             ;   in Loop: Header=BB6_1165 Depth=2
	s_bcnt1_i32_b32 s28, s28
	s_delay_alu instid0(SALU_CYCLE_1)
	v_mov_b32_e32 v2, s28
	ds_add_u64 v0, v[2:3]
	s_cbranch_execnz .LBB6_1852
.LBB6_1304:                             ;   in Loop: Header=BB6_1165 Depth=2
	s_or_b32 exec_lo, exec_lo, s20
	s_cbranch_execnz .LBB6_1832
; %bb.1305:                             ;   in Loop: Header=BB6_1165 Depth=2
	ds_load_b64 v[38:39], v0
	v_add_co_u32 v12, vcc_lo, v12, v83
	v_add_co_ci_u32_e32 v13, vcc_lo, 0, v13, vcc_lo
	s_mov_b32 s20, exec_lo
	s_waitcnt lgkmcnt(0)
	s_delay_alu instid0(VALU_DEP_1)
	v_cmpx_lt_u64_e64 v[38:39], v[12:13]
	s_cbranch_execz .LBB6_1316
; %bb.1306:                             ;   in Loop: Header=BB6_1165 Depth=2
	s_mov_b32 s28, 0
	s_mov_b32 s37, 0
                                        ; implicit-def: $sgpr35
                                        ; implicit-def: $sgpr36
	s_branch .LBB6_1308
.LBB6_1307:                             ;   in Loop: Header=BB6_1308 Depth=3
	s_or_b32 exec_lo, exec_lo, s39
	s_delay_alu instid0(SALU_CYCLE_1) | instskip(NEXT) | instid1(SALU_CYCLE_1)
	s_and_b32 vcc_lo, exec_lo, vcc_lo
	s_or_b32 s28, vcc_lo, s28
	s_and_not1_b32 vcc_lo, s35, exec_lo
	s_and_b32 s35, s36, exec_lo
	s_delay_alu instid0(SALU_CYCLE_1)
	s_or_b32 s35, vcc_lo, s35
	s_and_not1_b32 exec_lo, exec_lo, s28
	s_cbranch_execz .LBB6_1314
.LBB6_1308:                             ;   Parent Loop BB6_51 Depth=1
                                        ;     Parent Loop BB6_1165 Depth=2
                                        ; =>    This Inner Loop Header: Depth=3
	s_add_i32 s37, s37, 1
                                        ; implicit-def: $sgpr39
	s_delay_alu instid0(SALU_CYCLE_1) | instskip(SKIP_1) | instid1(SALU_CYCLE_1)
	s_cmpk_lg_i32 s37, 0x2710
	s_cselect_b32 s38, -1, 0
	s_and_b32 vcc_lo, exec_lo, s38
	s_cbranch_vccz .LBB6_1312
.LBB6_1309:                             ;   in Loop: Header=BB6_1308 Depth=3
	s_and_not1_b32 s36, s36, exec_lo
	s_and_b32 s39, s39, exec_lo
	s_mov_b32 vcc_lo, -1
	s_or_b32 s36, s36, s39
	s_and_saveexec_b32 s39, s38
	s_cbranch_execz .LBB6_1307
; %bb.1310:                             ;   in Loop: Header=BB6_1308 Depth=3
	s_sleep 1
	s_cbranch_execnz .LBB6_1884
; %bb.1311:                             ;   in Loop: Header=BB6_1308 Depth=3
	ds_load_b64 v[38:39], v0
	s_and_not1_b32 s36, s36, exec_lo
	s_waitcnt lgkmcnt(0)
	v_cmp_ge_u64_e32 vcc_lo, v[38:39], v[12:13]
	s_or_not1_b32 vcc_lo, vcc_lo, exec_lo
	s_branch .LBB6_1307
.LBB6_1312:                             ;   in Loop: Header=BB6_1308 Depth=3
	s_cbranch_execnz .LBB6_1898
; %bb.1313:                             ;   in Loop: Header=BB6_1308 Depth=3
	ds_load_b64 v[38:39], v0
	s_and_not1_b32 s38, s38, exec_lo
	s_mov_b32 s37, 0
	s_mov_b32 s39, -1
	s_waitcnt lgkmcnt(0)
	s_waitcnt_vscnt null, 0x0
	flat_load_b32 v2, v[38:39] glc
	s_waitcnt vmcnt(0) lgkmcnt(0)
	buffer_gl1_inv
	buffer_gl0_inv
	v_cmp_eq_u32_e32 vcc_lo, 0, v2
	s_and_b32 vcc_lo, vcc_lo, exec_lo
	s_delay_alu instid0(SALU_CYCLE_1)
	s_or_b32 s38, s38, vcc_lo
	s_branch .LBB6_1309
.LBB6_1314:                             ;   in Loop: Header=BB6_1165 Depth=2
	s_or_b32 exec_lo, exec_lo, s28
	s_and_saveexec_b32 s28, s35
	s_delay_alu instid0(SALU_CYCLE_1)
	s_xor_b32 s28, exec_lo, s28
	s_cbranch_execz .LBB6_1316
; %bb.1315:                             ;   in Loop: Header=BB6_1165 Depth=2
	ds_store_b32 v0, v130
	s_cbranch_execnz .LBB6_1946
.LBB6_1316:                             ;   in Loop: Header=BB6_1165 Depth=2
	s_or_b32 exec_lo, exec_lo, s20
	;;#ASMSTART
	s_wakeup
	;;#ASMEND
.LBB6_1317:                             ;   in Loop: Header=BB6_1165 Depth=2
	s_or_b32 exec_lo, exec_lo, s14
.LBB6_1318:                             ;   in Loop: Header=BB6_1165 Depth=2
	s_and_not1_saveexec_b32 s13, s13
	s_cbranch_execz .LBB6_1320
; %bb.1319:                             ;   in Loop: Header=BB6_1165 Depth=2
	;;#ASMSTART
	s_waitcnt lgkmcnt(0) vmcnt(0)
	;;#ASMEND
	s_waitcnt lgkmcnt(0)
	s_waitcnt_vscnt null, 0x0
	s_barrier
.LBB6_1320:                             ;   in Loop: Header=BB6_1165 Depth=2
	s_or_b32 exec_lo, exec_lo, s13
.LBB6_1321:                             ;   in Loop: Header=BB6_1165 Depth=2
	s_delay_alu instid0(SALU_CYCLE_1) | instskip(SKIP_2) | instid1(VALU_DEP_1)
	s_or_b32 exec_lo, exec_lo, s6
	v_and_b32_e32 v2, 32, v30
	s_mov_b32 s6, exec_lo
	v_cmpx_ne_u32_e32 0, v2
	s_cbranch_execz .LBB6_1323
; %bb.1322:                             ;   in Loop: Header=BB6_1165 Depth=2
	v_add_co_u32 v22, vcc_lo, v22, 2
	v_add_co_ci_u32_e32 v23, vcc_lo, 0, v23, vcc_lo
	s_waitcnt lgkmcnt(0)
	s_waitcnt_vscnt null, 0x0
	flat_store_b64 v[20:21], v[22:23]
.LBB6_1323:                             ;   in Loop: Header=BB6_1165 Depth=2
	s_or_b32 exec_lo, exec_lo, s6
	v_add_nc_u32_e32 v8, v51, v8
	s_xor_b32 s6, s31, -1
	v_mov_b32_e32 v2, s34
	s_mov_b32 s31, 0
	s_mov_b32 s34, 2
	v_cmp_ge_i32_e32 vcc_lo, v8, v50
	s_or_b32 s6, s6, vcc_lo
	s_delay_alu instid0(SALU_CYCLE_1) | instskip(NEXT) | instid1(SALU_CYCLE_1)
	s_and_b32 s6, exec_lo, s6
	s_or_b32 s30, s6, s30
	s_delay_alu instid0(SALU_CYCLE_1)
	s_and_not1_b32 exec_lo, exec_lo, s30
	s_cbranch_execnz .LBB6_1165
; %bb.1324:                             ;   in Loop: Header=BB6_51 Depth=1
	s_or_b32 exec_lo, exec_lo, s30
.LBB6_1325:                             ;   in Loop: Header=BB6_51 Depth=1
	s_delay_alu instid0(SALU_CYCLE_1) | instskip(NEXT) | instid1(SALU_CYCLE_1)
	s_or_b32 exec_lo, exec_lo, s15
	s_mov_b32 s14, exec_lo
	v_cmpx_gt_i32_e32 2, v2
	s_cbranch_execz .LBB6_1404
; %bb.1326:                             ;   in Loop: Header=BB6_51 Depth=1
	v_cmp_eq_u32_e64 s6, 0, v2
	s_mov_b32 s15, 0
.LBB6_1327:                             ;   Parent Loop BB6_51 Depth=1
                                        ; =>  This Loop Header: Depth=2
                                        ;       Child Loop BB6_1333 Depth 3
                                        ;       Child Loop BB6_1360 Depth 3
	;; [unrolled: 1-line block ×3, first 2 shown]
	v_and_b32_e32 v2, 4, v30
	s_mov_b32 s20, -1
	s_mov_b32 s13, exec_lo
	s_delay_alu instid0(VALU_DEP_1)
	v_cmpx_ne_u32_e32 0, v2
	s_cbranch_execz .LBB6_1341
; %bb.1328:                             ;   in Loop: Header=BB6_1327 Depth=2
	v_add_co_u32 v9, vcc_lo, v22, 2
	v_add_co_ci_u32_e32 v10, vcc_lo, 0, v23, vcc_lo
	v_mov_b32_e32 v2, 1
	s_mov_b32 s20, exec_lo
	s_delay_alu instid0(VALU_DEP_2)
	v_cmpx_lt_u64_e64 v[28:29], v[9:10]
	s_cbranch_execz .LBB6_1340
; %bb.1329:                             ;   in Loop: Header=BB6_1327 Depth=2
	v_mov_b32_e32 v2, 0
	s_mov_b32 s28, 0
                                        ; implicit-def: $sgpr30
	s_branch .LBB6_1333
.LBB6_1330:                             ;   in Loop: Header=BB6_1333 Depth=3
	s_or_b32 exec_lo, exec_lo, s36
	v_mov_b32_e32 v11, 0
	s_or_not1_b32 s35, s35, exec_lo
.LBB6_1331:                             ;   in Loop: Header=BB6_1333 Depth=3
	s_or_b32 exec_lo, exec_lo, s34
	s_delay_alu instid0(VALU_DEP_1) | instskip(SKIP_2) | instid1(SALU_CYCLE_1)
	v_mov_b32_e32 v2, v11
	s_and_not1_b32 vcc_lo, s30, exec_lo
	s_and_b32 s30, s35, exec_lo
	s_or_b32 s30, vcc_lo, s30
.LBB6_1332:                             ;   in Loop: Header=BB6_1333 Depth=3
	s_or_b32 exec_lo, exec_lo, s31
	s_waitcnt vmcnt(0) lgkmcnt(0)
	v_cmp_ge_u64_e32 vcc_lo, v[28:29], v[9:10]
	s_xor_b32 s31, s30, -1
	s_delay_alu instid0(SALU_CYCLE_1) | instskip(NEXT) | instid1(SALU_CYCLE_1)
	s_or_b32 vcc_lo, s31, vcc_lo
	s_and_b32 vcc_lo, exec_lo, vcc_lo
	s_delay_alu instid0(SALU_CYCLE_1) | instskip(NEXT) | instid1(SALU_CYCLE_1)
	s_or_b32 s28, vcc_lo, s28
	s_and_not1_b32 exec_lo, exec_lo, s28
	s_cbranch_execz .LBB6_1339
.LBB6_1333:                             ;   Parent Loop BB6_51 Depth=1
                                        ;     Parent Loop BB6_1327 Depth=2
                                        ; =>    This Inner Loop Header: Depth=3
	s_sleep 1
	flat_load_b64 v[28:29], v[20:21] glc
	v_and_b32_e32 v11, 64, v30
	s_and_not1_b32 s30, s30, exec_lo
	s_mov_b32 s31, exec_lo
	s_delay_alu instid0(VALU_DEP_1)
	v_cmpx_eq_u32_e32 0, v11
	s_cbranch_execz .LBB6_1332
; %bb.1334:                             ;   in Loop: Header=BB6_1333 Depth=3
	v_add_nc_u32_e32 v11, 1, v2
	s_mov_b32 s35, -1
	s_mov_b32 s34, exec_lo
	v_cmpx_lt_i32_e32 0x270e, v2
	s_cbranch_execz .LBB6_1331
; %bb.1335:                             ;   in Loop: Header=BB6_1333 Depth=3
	s_cbranch_execnz .LBB6_1618
; %bb.1336:                             ;   in Loop: Header=BB6_1333 Depth=3
	ds_load_b64 v[38:39], v0
	s_mov_b32 s36, exec_lo
	s_waitcnt vmcnt(0) lgkmcnt(0)
	s_waitcnt_vscnt null, 0x0
	flat_load_b32 v2, v[38:39] glc
	s_waitcnt vmcnt(0) lgkmcnt(0)
	buffer_gl1_inv
	buffer_gl0_inv
	v_cmpx_ne_u32_e32 0, v2
	s_cbranch_execz .LBB6_1330
; %bb.1337:                             ;   in Loop: Header=BB6_1333 Depth=3
	ds_store_b32 v0, v2
	s_cbranch_execnz .LBB6_1692
; %bb.1338:                             ;   in Loop: Header=BB6_1333 Depth=3
	v_or_b32_e32 v30, 64, v30
	s_xor_b32 s35, exec_lo, -1
	s_branch .LBB6_1330
.LBB6_1339:                             ;   in Loop: Header=BB6_1327 Depth=2
	s_or_b32 exec_lo, exec_lo, s28
	v_and_b32_e32 v2, 4, v30
.LBB6_1340:                             ;   in Loop: Header=BB6_1327 Depth=2
	s_or_b32 exec_lo, exec_lo, s20
	s_delay_alu instid0(VALU_DEP_1)
	v_cmp_eq_u32_e32 vcc_lo, 0, v2
	;;#ASMSTART
	s_wakeup
	;;#ASMEND
	s_or_not1_b32 s20, vcc_lo, exec_lo
.LBB6_1341:                             ;   in Loop: Header=BB6_1327 Depth=2
	s_or_b32 exec_lo, exec_lo, s13
	s_xor_b32 s6, s6, -1
	s_delay_alu instid0(SALU_CYCLE_1) | instskip(NEXT) | instid1(SALU_CYCLE_1)
	s_and_b32 s6, exec_lo, s6
	s_or_b32 s15, s6, s15
	s_xor_b32 s13, s20, -1
	s_delay_alu instid0(SALU_CYCLE_1)
	s_and_saveexec_b32 s6, s13
	s_cbranch_execz .LBB6_1351
; %bb.1342:                             ;   in Loop: Header=BB6_1327 Depth=2
	v_and_b32_e32 v2, 0x100, v30
	s_mov_b32 s13, -1
                                        ; implicit-def: $vgpr9_vgpr10
	s_delay_alu instid0(VALU_DEP_1)
	v_cmp_ne_u32_e32 vcc_lo, 0, v2
	v_and_b32_e32 v2, 7, v22
	s_and_saveexec_b32 s20, vcc_lo
	s_cbranch_execz .LBB6_1346
; %bb.1343:                             ;   in Loop: Header=BB6_1327 Depth=2
	s_delay_alu instid0(VALU_DEP_1) | instskip(SKIP_4) | instid1(VALU_DEP_1)
	v_mad_u64_u32 v[38:39], null, v2, 24, v[6:7]
	flat_load_b32 v9, v[38:39]
	s_waitcnt vmcnt(0) lgkmcnt(0)
	v_cmp_ne_u32_e32 vcc_lo, 1, v9
	v_cmp_eq_u32_e64 s13, 1, v9
                                        ; implicit-def: $vgpr9_vgpr10
	s_and_saveexec_b32 s28, s13
	s_cbranch_execz .LBB6_1345
; %bb.1344:                             ;   in Loop: Header=BB6_1327 Depth=2
	flat_load_b32 v9, v[38:39] offset:4 glc
	s_waitcnt vmcnt(0) lgkmcnt(0)
	v_ashrrev_i32_e32 v10, 31, v9
	s_delay_alu instid0(VALU_DEP_1)
	v_lshrrev_b64 v[9:10], 3, v[9:10]
.LBB6_1345:                             ;   in Loop: Header=BB6_1327 Depth=2
	s_or_b32 exec_lo, exec_lo, s28
	s_delay_alu instid0(SALU_CYCLE_1)
	s_or_not1_b32 s13, vcc_lo, exec_lo
.LBB6_1346:                             ;   in Loop: Header=BB6_1327 Depth=2
	s_or_b32 exec_lo, exec_lo, s20
	s_and_saveexec_b32 s20, s13
; %bb.1347:                             ;   in Loop: Header=BB6_1327 Depth=2
	v_mad_i64_i32 v[9:10], null, v2, v81, 0
; %bb.1348:                             ;   in Loop: Header=BB6_1327 Depth=2
	s_or_b32 exec_lo, exec_lo, s20
	s_delay_alu instid0(VALU_DEP_1) | instskip(SKIP_2) | instid1(VALU_DEP_2)
	v_lshlrev_b64 v[9:10], 3, v[9:10]
	v_and_b32_e32 v2, 0x2000, v30
	s_mov_b32 s13, exec_lo
	v_add_co_u32 v9, vcc_lo, v24, v9
	s_delay_alu instid0(VALU_DEP_3)
	v_add_co_ci_u32_e32 v10, vcc_lo, v25, v10, vcc_lo
	ds_store_b64 v0, v[9:10] offset:720
	v_cmpx_ne_u32_e32 0, v2
	s_cbranch_execz .LBB6_1350
; %bb.1349:                             ;   in Loop: Header=BB6_1327 Depth=2
	ds_load_b64 v[9:10], v0 offset:584
	s_waitcnt lgkmcnt(0)
	v_add_co_u32 v9, vcc_lo, v9, 1
	v_add_co_ci_u32_e32 v10, vcc_lo, 0, v10, vcc_lo
	ds_store_b64 v0, v[9:10] offset:584
.LBB6_1350:                             ;   in Loop: Header=BB6_1327 Depth=2
	s_or_b32 exec_lo, exec_lo, s13
	v_add_co_u32 v22, vcc_lo, v22, 2
	v_add_co_ci_u32_e32 v23, vcc_lo, 0, v23, vcc_lo
.LBB6_1351:                             ;   in Loop: Header=BB6_1327 Depth=2
	s_or_b32 exec_lo, exec_lo, s6
	s_and_saveexec_b32 s6, s3
	s_cbranch_execz .LBB6_1373
; %bb.1352:                             ;   in Loop: Header=BB6_1327 Depth=2
	s_and_saveexec_b32 s13, s4
	s_delay_alu instid0(SALU_CYCLE_1)
	s_xor_b32 s13, exec_lo, s13
	s_cbranch_execz .LBB6_1370
; %bb.1353:                             ;   in Loop: Header=BB6_1327 Depth=2
	s_and_saveexec_b32 s20, s1
	s_cbranch_execz .LBB6_1369
; %bb.1354:                             ;   in Loop: Header=BB6_1327 Depth=2
	s_mov_b32 s30, exec_lo
	s_mov_b32 s28, exec_lo
	v_mbcnt_lo_u32_b32 v2, s30, 0
	s_waitcnt lgkmcnt(0)
	s_waitcnt_vscnt null, 0x0
	buffer_gl1_inv
	buffer_gl0_inv
	v_cmpx_eq_u32_e32 0, v2
	s_cbranch_execz .LBB6_1356
; %bb.1355:                             ;   in Loop: Header=BB6_1327 Depth=2
	s_bcnt1_i32_b32 vcc_lo, s30
	s_delay_alu instid0(SALU_CYCLE_1)
	v_mov_b32_e32 v2, vcc_lo
	ds_add_u64 v0, v[2:3]
	s_cbranch_execnz .LBB6_1726
.LBB6_1356:                             ;   in Loop: Header=BB6_1327 Depth=2
	s_or_b32 exec_lo, exec_lo, s28
	s_cbranch_execnz .LBB6_1700
; %bb.1357:                             ;   in Loop: Header=BB6_1327 Depth=2
	ds_load_b64 v[9:10], v0
	v_add_co_u32 v12, vcc_lo, v12, v83
	v_add_co_ci_u32_e32 v13, vcc_lo, 0, v13, vcc_lo
	s_mov_b32 s28, exec_lo
	s_waitcnt lgkmcnt(0)
	s_delay_alu instid0(VALU_DEP_1)
	v_cmpx_lt_u64_e64 v[9:10], v[12:13]
	s_cbranch_execz .LBB6_1368
; %bb.1358:                             ;   in Loop: Header=BB6_1327 Depth=2
	s_mov_b32 s30, 0
	s_mov_b32 s35, 0
                                        ; implicit-def: $sgpr31
                                        ; implicit-def: $sgpr34
	s_branch .LBB6_1360
.LBB6_1359:                             ;   in Loop: Header=BB6_1360 Depth=3
	s_or_b32 exec_lo, exec_lo, s37
	s_delay_alu instid0(SALU_CYCLE_1) | instskip(NEXT) | instid1(SALU_CYCLE_1)
	s_and_b32 vcc_lo, exec_lo, vcc_lo
	s_or_b32 s30, vcc_lo, s30
	s_and_not1_b32 vcc_lo, s31, exec_lo
	s_and_b32 s31, s34, exec_lo
	s_delay_alu instid0(SALU_CYCLE_1)
	s_or_b32 s31, vcc_lo, s31
	s_and_not1_b32 exec_lo, exec_lo, s30
	s_cbranch_execz .LBB6_1366
.LBB6_1360:                             ;   Parent Loop BB6_51 Depth=1
                                        ;     Parent Loop BB6_1327 Depth=2
                                        ; =>    This Inner Loop Header: Depth=3
	s_add_i32 s35, s35, 1
                                        ; implicit-def: $sgpr37
	s_delay_alu instid0(SALU_CYCLE_1) | instskip(SKIP_1) | instid1(SALU_CYCLE_1)
	s_cmpk_lg_i32 s35, 0x2710
	s_cselect_b32 s36, -1, 0
	s_and_b32 vcc_lo, exec_lo, s36
	s_cbranch_vccz .LBB6_1364
.LBB6_1361:                             ;   in Loop: Header=BB6_1360 Depth=3
	s_and_not1_b32 s34, s34, exec_lo
	s_and_b32 s37, s37, exec_lo
	s_mov_b32 vcc_lo, -1
	s_or_b32 s34, s34, s37
	s_and_saveexec_b32 s37, s36
	s_cbranch_execz .LBB6_1359
; %bb.1362:                             ;   in Loop: Header=BB6_1360 Depth=3
	s_sleep 1
	s_cbranch_execnz .LBB6_1778
; %bb.1363:                             ;   in Loop: Header=BB6_1360 Depth=3
	ds_load_b64 v[9:10], v0
	s_and_not1_b32 s34, s34, exec_lo
	s_waitcnt lgkmcnt(0)
	v_cmp_ge_u64_e32 vcc_lo, v[9:10], v[12:13]
	s_or_not1_b32 vcc_lo, vcc_lo, exec_lo
	s_branch .LBB6_1359
.LBB6_1364:                             ;   in Loop: Header=BB6_1360 Depth=3
	s_cbranch_execnz .LBB6_1796
; %bb.1365:                             ;   in Loop: Header=BB6_1360 Depth=3
	ds_load_b64 v[9:10], v0
	s_and_not1_b32 s36, s36, exec_lo
	s_mov_b32 s35, 0
	s_mov_b32 s37, -1
	s_waitcnt lgkmcnt(0)
	flat_load_b32 v2, v[9:10] glc
	s_waitcnt vmcnt(0) lgkmcnt(0)
	buffer_gl1_inv
	buffer_gl0_inv
	v_cmp_eq_u32_e32 vcc_lo, 0, v2
	s_and_b32 vcc_lo, vcc_lo, exec_lo
	s_delay_alu instid0(SALU_CYCLE_1)
	s_or_b32 s36, s36, vcc_lo
	s_branch .LBB6_1361
.LBB6_1366:                             ;   in Loop: Header=BB6_1327 Depth=2
	s_or_b32 exec_lo, exec_lo, s30
	s_and_saveexec_b32 vcc_lo, s31
	s_delay_alu instid0(SALU_CYCLE_1)
	s_xor_b32 vcc_lo, exec_lo, vcc_lo
	s_cbranch_execz .LBB6_1368
; %bb.1367:                             ;   in Loop: Header=BB6_1327 Depth=2
	ds_store_b32 v0, v130
	s_cbranch_execnz .LBB6_1920
.LBB6_1368:                             ;   in Loop: Header=BB6_1327 Depth=2
	s_or_b32 exec_lo, exec_lo, s28
	;;#ASMSTART
	s_wakeup
	;;#ASMEND
.LBB6_1369:                             ;   in Loop: Header=BB6_1327 Depth=2
	s_or_b32 exec_lo, exec_lo, s20
.LBB6_1370:                             ;   in Loop: Header=BB6_1327 Depth=2
	s_and_not1_saveexec_b32 s13, s13
	s_cbranch_execz .LBB6_1372
; %bb.1371:                             ;   in Loop: Header=BB6_1327 Depth=2
	s_waitcnt lgkmcnt(0)
	s_waitcnt_vscnt null, 0x0
	buffer_gl1_inv
	buffer_gl0_inv
	s_barrier
.LBB6_1372:                             ;   in Loop: Header=BB6_1327 Depth=2
	s_or_b32 exec_lo, exec_lo, s13
.LBB6_1373:                             ;   in Loop: Header=BB6_1327 Depth=2
	s_delay_alu instid0(SALU_CYCLE_1) | instskip(SKIP_1) | instid1(VALU_DEP_1)
	s_or_b32 exec_lo, exec_lo, s6
	v_sub_nc_u32_e32 v2, v50, v8
	v_min_i32_e32 v51, v51, v2
	s_and_saveexec_b32 s6, s7
	s_delay_alu instid0(SALU_CYCLE_1)
	s_xor_b32 s6, exec_lo, s6
	s_cbranch_execz .LBB6_1378
; %bb.1374:                             ;   in Loop: Header=BB6_1327 Depth=2
	s_cbranch_execnz .LBB6_1614
; %bb.1375:                             ;   in Loop: Header=BB6_1327 Depth=2
	ds_load_b32 v2, v0
	v_cmp_lt_i32_e32 vcc_lo, 0, v51
	s_waitcnt lgkmcnt(0)
	v_readfirstlane_b32 s13, v2
	v_and_b32_e32 v2, 16, v30
	s_delay_alu instid0(VALU_DEP_2) | instskip(NEXT) | instid1(VALU_DEP_1)
	s_cmp_eq_u32 s13, 0
	v_cmp_ne_u32_e64 s13, 0, v2
	s_cselect_b32 s20, -1, 0
	s_delay_alu instid0(SALU_CYCLE_1)
	s_and_b32 s20, vcc_lo, s20
	s_delay_alu instid0(VALU_DEP_1) | instid1(SALU_CYCLE_1)
	s_and_b32 s20, s13, s20
	s_delay_alu instid0(SALU_CYCLE_1)
	s_and_saveexec_b32 s13, s20
	s_cbranch_execz .LBB6_1377
; %bb.1376:                             ;   in Loop: Header=BB6_1327 Depth=2
	s_waitcnt_vscnt null, 0x0
	buffer_gl1_inv
	buffer_gl0_inv
.LBB6_1377:                             ;   in Loop: Header=BB6_1327 Depth=2
	s_or_b32 exec_lo, exec_lo, s13
.LBB6_1378:                             ;   in Loop: Header=BB6_1327 Depth=2
	s_and_not1_saveexec_b32 s6, s6
	s_cbranch_execz .LBB6_1400
; %bb.1379:                             ;   in Loop: Header=BB6_1327 Depth=2
	s_and_saveexec_b32 s13, s4
	s_delay_alu instid0(SALU_CYCLE_1)
	s_xor_b32 s13, exec_lo, s13
	s_cbranch_execz .LBB6_1397
; %bb.1380:                             ;   in Loop: Header=BB6_1327 Depth=2
	s_and_saveexec_b32 s20, s1
	s_cbranch_execz .LBB6_1396
; %bb.1381:                             ;   in Loop: Header=BB6_1327 Depth=2
	s_mov_b32 s30, exec_lo
	s_mov_b32 s28, exec_lo
	v_mbcnt_lo_u32_b32 v2, s30, 0
	;;#ASMSTART
	s_waitcnt lgkmcnt(0) vmcnt(0)
	;;#ASMEND
	s_delay_alu instid0(VALU_DEP_1)
	v_cmpx_eq_u32_e32 0, v2
	s_cbranch_execz .LBB6_1383
; %bb.1382:                             ;   in Loop: Header=BB6_1327 Depth=2
	s_bcnt1_i32_b32 vcc_lo, s30
	s_delay_alu instid0(SALU_CYCLE_1)
	v_mov_b32_e32 v2, vcc_lo
	ds_add_u64 v0, v[2:3]
	s_cbranch_execnz .LBB6_1752
.LBB6_1383:                             ;   in Loop: Header=BB6_1327 Depth=2
	s_or_b32 exec_lo, exec_lo, s28
	s_cbranch_execnz .LBB6_1724
; %bb.1384:                             ;   in Loop: Header=BB6_1327 Depth=2
	ds_load_b64 v[9:10], v0
	v_add_co_u32 v12, vcc_lo, v12, v83
	v_add_co_ci_u32_e32 v13, vcc_lo, 0, v13, vcc_lo
	s_mov_b32 s28, exec_lo
	s_waitcnt lgkmcnt(0)
	s_delay_alu instid0(VALU_DEP_1)
	v_cmpx_lt_u64_e64 v[9:10], v[12:13]
	s_cbranch_execz .LBB6_1395
; %bb.1385:                             ;   in Loop: Header=BB6_1327 Depth=2
	s_mov_b32 s30, 0
	s_mov_b32 s35, 0
                                        ; implicit-def: $sgpr31
                                        ; implicit-def: $sgpr34
	s_branch .LBB6_1387
.LBB6_1386:                             ;   in Loop: Header=BB6_1387 Depth=3
	s_or_b32 exec_lo, exec_lo, s37
	s_delay_alu instid0(SALU_CYCLE_1) | instskip(NEXT) | instid1(SALU_CYCLE_1)
	s_and_b32 vcc_lo, exec_lo, vcc_lo
	s_or_b32 s30, vcc_lo, s30
	s_and_not1_b32 vcc_lo, s31, exec_lo
	s_and_b32 s31, s34, exec_lo
	s_delay_alu instid0(SALU_CYCLE_1)
	s_or_b32 s31, vcc_lo, s31
	s_and_not1_b32 exec_lo, exec_lo, s30
	s_cbranch_execz .LBB6_1393
.LBB6_1387:                             ;   Parent Loop BB6_51 Depth=1
                                        ;     Parent Loop BB6_1327 Depth=2
                                        ; =>    This Inner Loop Header: Depth=3
	s_add_i32 s35, s35, 1
                                        ; implicit-def: $sgpr37
	s_delay_alu instid0(SALU_CYCLE_1) | instskip(SKIP_1) | instid1(SALU_CYCLE_1)
	s_cmpk_lg_i32 s35, 0x2710
	s_cselect_b32 s36, -1, 0
	s_and_b32 vcc_lo, exec_lo, s36
	s_cbranch_vccz .LBB6_1391
.LBB6_1388:                             ;   in Loop: Header=BB6_1387 Depth=3
	s_and_not1_b32 s34, s34, exec_lo
	s_and_b32 s37, s37, exec_lo
	s_mov_b32 vcc_lo, -1
	s_or_b32 s34, s34, s37
	s_and_saveexec_b32 s37, s36
	s_cbranch_execz .LBB6_1386
; %bb.1389:                             ;   in Loop: Header=BB6_1387 Depth=3
	s_sleep 1
	s_cbranch_execnz .LBB6_1806
; %bb.1390:                             ;   in Loop: Header=BB6_1387 Depth=3
	ds_load_b64 v[9:10], v0
	s_and_not1_b32 s34, s34, exec_lo
	s_waitcnt lgkmcnt(0)
	v_cmp_ge_u64_e32 vcc_lo, v[9:10], v[12:13]
	s_or_not1_b32 vcc_lo, vcc_lo, exec_lo
	s_branch .LBB6_1386
.LBB6_1391:                             ;   in Loop: Header=BB6_1387 Depth=3
	s_cbranch_execnz .LBB6_1828
; %bb.1392:                             ;   in Loop: Header=BB6_1387 Depth=3
	ds_load_b64 v[9:10], v0
	s_and_not1_b32 s36, s36, exec_lo
	s_mov_b32 s35, 0
	s_mov_b32 s37, -1
	s_waitcnt lgkmcnt(0)
	s_waitcnt_vscnt null, 0x0
	flat_load_b32 v2, v[9:10] glc
	s_waitcnt vmcnt(0) lgkmcnt(0)
	buffer_gl1_inv
	buffer_gl0_inv
	v_cmp_eq_u32_e32 vcc_lo, 0, v2
	s_and_b32 vcc_lo, vcc_lo, exec_lo
	s_delay_alu instid0(SALU_CYCLE_1)
	s_or_b32 s36, s36, vcc_lo
	s_branch .LBB6_1388
.LBB6_1393:                             ;   in Loop: Header=BB6_1327 Depth=2
	s_or_b32 exec_lo, exec_lo, s30
	s_and_saveexec_b32 vcc_lo, s31
	s_delay_alu instid0(SALU_CYCLE_1)
	s_xor_b32 vcc_lo, exec_lo, vcc_lo
	s_cbranch_execz .LBB6_1395
; %bb.1394:                             ;   in Loop: Header=BB6_1327 Depth=2
	ds_store_b32 v0, v130
	s_cbranch_execnz .LBB6_1932
.LBB6_1395:                             ;   in Loop: Header=BB6_1327 Depth=2
	s_or_b32 exec_lo, exec_lo, s28
	;;#ASMSTART
	s_wakeup
	;;#ASMEND
.LBB6_1396:                             ;   in Loop: Header=BB6_1327 Depth=2
	s_or_b32 exec_lo, exec_lo, s20
.LBB6_1397:                             ;   in Loop: Header=BB6_1327 Depth=2
	s_and_not1_saveexec_b32 s13, s13
	s_cbranch_execz .LBB6_1399
; %bb.1398:                             ;   in Loop: Header=BB6_1327 Depth=2
	;;#ASMSTART
	s_waitcnt lgkmcnt(0) vmcnt(0)
	;;#ASMEND
	s_waitcnt lgkmcnt(0)
	s_waitcnt_vscnt null, 0x0
	s_barrier
.LBB6_1399:                             ;   in Loop: Header=BB6_1327 Depth=2
	s_or_b32 exec_lo, exec_lo, s13
.LBB6_1400:                             ;   in Loop: Header=BB6_1327 Depth=2
	s_delay_alu instid0(SALU_CYCLE_1) | instskip(SKIP_2) | instid1(VALU_DEP_1)
	s_or_b32 exec_lo, exec_lo, s6
	v_and_b32_e32 v2, 32, v30
	s_mov_b32 s6, exec_lo
	v_cmpx_ne_u32_e32 0, v2
	s_cbranch_execz .LBB6_1402
; %bb.1401:                             ;   in Loop: Header=BB6_1327 Depth=2
	v_add_co_u32 v22, vcc_lo, v22, 2
	v_add_co_ci_u32_e32 v23, vcc_lo, 0, v23, vcc_lo
	s_waitcnt lgkmcnt(0)
	s_waitcnt_vscnt null, 0x0
	flat_store_b64 v[20:21], v[22:23]
.LBB6_1402:                             ;   in Loop: Header=BB6_1327 Depth=2
	s_or_b32 exec_lo, exec_lo, s6
	v_add_nc_u32_e32 v8, v51, v8
	s_mov_b32 s6, 0
	s_and_not1_b32 exec_lo, exec_lo, s15
	s_cbranch_execnz .LBB6_1327
; %bb.1403:                             ;   in Loop: Header=BB6_51 Depth=1
	s_or_b32 exec_lo, exec_lo, s15
.LBB6_1404:                             ;   in Loop: Header=BB6_51 Depth=1
	s_delay_alu instid0(SALU_CYCLE_1)
	s_or_b32 exec_lo, exec_lo, s14
	v_add_co_u32 v34, vcc_lo, v34, v32
	v_add_co_ci_u32_e32 v35, vcc_lo, v35, v33, vcc_lo
	v_readlane_b32 s15, v47, 1
	v_readlane_b32 s35, v47, 10
	;; [unrolled: 1-line block ×3, first 2 shown]
	s_delay_alu instid0(VALU_DEP_4)
	v_cmp_ge_i64_e32 vcc_lo, v[34:35], v[4:5]
	v_readlane_b32 s13, v47, 12
	s_mov_b32 s14, s17
	s_mov_b32 s34, s16
	v_readlane_b32 s6, v47, 2
	s_or_b32 s15, vcc_lo, s15
	s_mov_b32 s36, vcc_hi
	v_writelane_b32 v47, s15, 1
	s_and_not1_b32 exec_lo, exec_lo, s15
	s_cbranch_execnz .LBB6_51
; %bb.1405:
	s_delay_alu instid0(VALU_DEP_1) | instskip(NEXT) | instid1(VALU_DEP_1)
	v_readlane_b32 s0, v47, 1
	s_or_b32 exec_lo, exec_lo, s0
	v_readlane_b32 s2, v47, 0
.LBB6_1406:
	s_delay_alu instid0(VALU_DEP_1)
	s_or_b32 exec_lo, exec_lo, s2
; %bb.1407:
	v_and_b32_e32 v0, 0x800, v30
	s_mov_b32 s0, exec_lo
	s_delay_alu instid0(VALU_DEP_1)
	v_cmpx_eq_u32_e32 0, v0
	s_cbranch_execz .LBB6_1664
; %bb.1408:
	v_and_b32_e32 v0, 48, v30
	s_mov_b32 s1, exec_lo
	s_delay_alu instid0(VALU_DEP_1)
	v_cmpx_ne_u32_e32 0, v0
	s_cbranch_execz .LBB6_1410
; %bb.1409:
	flat_store_b64 v[18:19], v[22:23] offset:104
.LBB6_1410:
	s_or_b32 exec_lo, exec_lo, s1
	v_and_b32_e32 v0, 0x88, v30
	s_mov_b32 s1, exec_lo
	s_delay_alu instid0(VALU_DEP_1)
	v_cmpx_eq_u32_e32 0x88, v0
	s_cbranch_execz .LBB6_1460
; %bb.1411:
	v_add_nc_u32_e32 v0, 6, v22
	s_mov_b32 s2, 0
                                        ; implicit-def: $sgpr3
	s_delay_alu instid0(VALU_DEP_1) | instskip(NEXT) | instid1(VALU_DEP_1)
	v_and_b32_e32 v0, 7, v0
	v_mad_u64_u32 v[2:3], null, v0, 24, v[6:7]
	v_mov_b32_e32 v0, 0
	s_delay_alu instid0(VALU_DEP_2) | instskip(NEXT) | instid1(VALU_DEP_3)
	v_add_co_u32 v2, vcc_lo, v2, 8
	v_add_co_ci_u32_e32 v3, vcc_lo, 0, v3, vcc_lo
	s_branch .LBB6_1446
.LBB6_1412:
	s_trap 2
	s_sendmsg_rtn_b32 s0, sendmsg(MSG_RTN_GET_DOORBELL)
	s_mov_b32 ttmp2, m0
	s_waitcnt lgkmcnt(0)
	s_and_b32 s0, s0, 0x3ff
	s_delay_alu instid0(SALU_CYCLE_1) | instskip(NEXT) | instid1(SALU_CYCLE_1)
	s_bitset1_b32 s0, 10
	s_mov_b32 m0, s0
	s_sendmsg sendmsg(MSG_INTERRUPT)
	s_mov_b32 m0, ttmp2
.LBB6_1413:                             ; =>This Inner Loop Header: Depth=1
	s_sethalt 5
	s_branch .LBB6_1413
.LBB6_1414:
	v_bfe_u32 v9, v7, 8, 8
	v_not_b32_e32 v8, v8
	s_mov_b32 s1, exec_lo
                                        ; implicit-def: $vgpr32_vgpr33
                                        ; implicit-def: $vgpr14_vgpr15
                                        ; implicit-def: $vgpr4_vgpr5
	s_delay_alu instid0(VALU_DEP_2)
	v_cmpx_ne_u32_e64 v9, v6
	s_xor_b32 s1, exec_lo, s1
	s_cbranch_execz .LBB6_1416
; %bb.1415:
	s_clause 0x1
	flat_load_b128 v[9:12], v[2:3] offset:72
	flat_load_b64 v[4:5], v[2:3] offset:96
	v_add_nc_u32_e32 v6, v6, v8
                                        ; implicit-def: $vgpr8
	s_waitcnt vmcnt(0) lgkmcnt(0)
	v_lshrrev_b64 v[32:33], 15, v[4:5]
	v_dual_mov_b32 v4, v11 :: v_dual_mov_b32 v5, v12
	s_delay_alu instid0(VALU_DEP_3) | instskip(SKIP_2) | instid1(VALU_DEP_3)
	v_ashrrev_i32_e32 v7, 31, v6
	v_mad_u64_u32 v[14:15], null, v11, v6, v[9:10]
	v_mul_lo_u32 v6, v12, v6
                                        ; implicit-def: $vgpr9
	v_mul_lo_u32 v7, v11, v7
	s_delay_alu instid0(VALU_DEP_1)
	v_add3_u32 v15, v6, v15, v7
.LBB6_1416:
	s_and_not1_saveexec_b32 s1, s1
	s_cbranch_execz .LBB6_1418
; %bb.1417:
	s_clause 0x1
	flat_load_b128 v[10:13], v[2:3] offset:72
	flat_load_b128 v[4:7], v[2:3] offset:88
	s_waitcnt vmcnt(0) lgkmcnt(0)
	v_add_nc_u32_e32 v6, v9, v8
	s_delay_alu instid0(VALU_DEP_1) | instskip(NEXT) | instid1(VALU_DEP_1)
	v_ashrrev_i32_e32 v8, 31, v6
	v_mul_lo_u32 v8, v12, v8
	v_mad_u64_u32 v[14:15], null, v12, v6, v[10:11]
	v_mul_lo_u32 v6, v13, v6
	v_lshrrev_b32_e32 v32, 4, v7
	s_delay_alu instid0(VALU_DEP_2)
	v_add3_u32 v15, v6, v15, v8
.LBB6_1418:
	s_or_b32 exec_lo, exec_lo, s1
	s_and_not1_saveexec_b32 s0, s0
	s_cbranch_execz .LBB6_3
.LBB6_1419:
	s_clause 0x1
	flat_load_b64 v[6:7], v[2:3] offset:96
	flat_load_b64 v[4:5], v[2:3] offset:72
	v_mov_b32_e32 v14, 0
	v_mov_b32_e32 v15, 0
	s_waitcnt vmcnt(1) lgkmcnt(1)
	v_lshlrev_b64 v[32:33], 6, v[6:7]
	s_or_b32 exec_lo, exec_lo, s0
	s_cbranch_execz .LBB6_4
.LBB6_1420:
	s_trap 2
	s_sendmsg_rtn_b32 s0, sendmsg(MSG_RTN_GET_DOORBELL)
	s_mov_b32 ttmp2, m0
	s_waitcnt lgkmcnt(0)
	s_and_b32 s0, s0, 0x3ff
	s_delay_alu instid0(SALU_CYCLE_1) | instskip(NEXT) | instid1(SALU_CYCLE_1)
	s_bitset1_b32 s0, 10
	s_mov_b32 m0, s0
	s_sendmsg sendmsg(MSG_INTERRUPT)
	s_mov_b32 m0, ttmp2
.LBB6_1421:                             ; =>This Inner Loop Header: Depth=1
	s_sethalt 5
	s_branch .LBB6_1421
.LBB6_1422:
	s_trap 2
	s_sendmsg_rtn_b32 s0, sendmsg(MSG_RTN_GET_DOORBELL)
	s_mov_b32 ttmp2, m0
	s_waitcnt lgkmcnt(0)
	s_and_b32 s0, s0, 0x3ff
	s_delay_alu instid0(SALU_CYCLE_1) | instskip(NEXT) | instid1(SALU_CYCLE_1)
	s_bitset1_b32 s0, 10
	s_mov_b32 m0, s0
	s_sendmsg sendmsg(MSG_INTERRUPT)
	s_mov_b32 m0, ttmp2
.LBB6_1423:                             ; =>This Inner Loop Header: Depth=1
	s_sethalt 5
	s_branch .LBB6_1423
.LBB6_1424:
	s_trap 2
	s_sendmsg_rtn_b32 s0, sendmsg(MSG_RTN_GET_DOORBELL)
	s_mov_b32 ttmp2, m0
	s_waitcnt lgkmcnt(0)
	s_and_b32 s0, s0, 0x3ff
	s_delay_alu instid0(SALU_CYCLE_1) | instskip(NEXT) | instid1(SALU_CYCLE_1)
	s_bitset1_b32 s0, 10
	s_mov_b32 m0, s0
	s_sendmsg sendmsg(MSG_INTERRUPT)
	s_mov_b32 m0, ttmp2
.LBB6_1425:                             ; =>This Inner Loop Header: Depth=1
	s_sethalt 5
	s_branch .LBB6_1425
.LBB6_1426:
	s_trap 2
	s_sendmsg_rtn_b32 s0, sendmsg(MSG_RTN_GET_DOORBELL)
	s_mov_b32 ttmp2, m0
	s_waitcnt lgkmcnt(0)
	s_and_b32 s0, s0, 0x3ff
	s_delay_alu instid0(SALU_CYCLE_1) | instskip(NEXT) | instid1(SALU_CYCLE_1)
	s_bitset1_b32 s0, 10
	s_mov_b32 m0, s0
	s_sendmsg sendmsg(MSG_INTERRUPT)
	s_mov_b32 m0, ttmp2
.LBB6_1427:                             ; =>This Inner Loop Header: Depth=1
	s_sethalt 5
	s_branch .LBB6_1427
.LBB6_1428:
	s_trap 2
	s_sendmsg_rtn_b32 s0, sendmsg(MSG_RTN_GET_DOORBELL)
	s_mov_b32 ttmp2, m0
	s_waitcnt lgkmcnt(0)
	s_and_b32 s0, s0, 0x3ff
	s_delay_alu instid0(SALU_CYCLE_1) | instskip(NEXT) | instid1(SALU_CYCLE_1)
	s_bitset1_b32 s0, 10
	s_mov_b32 m0, s0
	s_sendmsg sendmsg(MSG_INTERRUPT)
	s_mov_b32 m0, ttmp2
.LBB6_1429:                             ; =>This Inner Loop Header: Depth=1
	s_sethalt 5
	s_branch .LBB6_1429
.LBB6_1430:
	s_trap 2
	s_sendmsg_rtn_b32 s0, sendmsg(MSG_RTN_GET_DOORBELL)
	s_mov_b32 ttmp2, m0
	s_waitcnt lgkmcnt(0)
	s_and_b32 s0, s0, 0x3ff
	s_delay_alu instid0(SALU_CYCLE_1) | instskip(NEXT) | instid1(SALU_CYCLE_1)
	s_bitset1_b32 s0, 10
	s_mov_b32 m0, s0
	s_sendmsg sendmsg(MSG_INTERRUPT)
	s_mov_b32 m0, ttmp2
.LBB6_1431:                             ; =>This Inner Loop Header: Depth=1
	s_sethalt 5
	s_branch .LBB6_1431
.LBB6_1432:
	s_trap 2
	s_sendmsg_rtn_b32 s0, sendmsg(MSG_RTN_GET_DOORBELL)
	s_mov_b32 ttmp2, m0
	s_waitcnt lgkmcnt(0)
	s_and_b32 s0, s0, 0x3ff
	s_delay_alu instid0(SALU_CYCLE_1) | instskip(NEXT) | instid1(SALU_CYCLE_1)
	s_bitset1_b32 s0, 10
	s_mov_b32 m0, s0
	s_sendmsg sendmsg(MSG_INTERRUPT)
	s_mov_b32 m0, ttmp2
.LBB6_1433:                             ; =>This Inner Loop Header: Depth=1
	s_sethalt 5
	s_branch .LBB6_1433
.LBB6_1434:
	s_trap 2
	s_sendmsg_rtn_b32 s0, sendmsg(MSG_RTN_GET_DOORBELL)
	s_mov_b32 ttmp2, m0
	s_waitcnt lgkmcnt(0)
	s_and_b32 s0, s0, 0x3ff
	s_delay_alu instid0(SALU_CYCLE_1) | instskip(NEXT) | instid1(SALU_CYCLE_1)
	s_bitset1_b32 s0, 10
	s_mov_b32 m0, s0
	s_sendmsg sendmsg(MSG_INTERRUPT)
	s_mov_b32 m0, ttmp2
.LBB6_1435:                             ; =>This Inner Loop Header: Depth=1
	s_sethalt 5
	s_branch .LBB6_1435
.LBB6_1436:
	s_trap 2
	s_sendmsg_rtn_b32 s0, sendmsg(MSG_RTN_GET_DOORBELL)
	s_mov_b32 ttmp2, m0
	s_waitcnt lgkmcnt(0)
	s_and_b32 s0, s0, 0x3ff
	s_delay_alu instid0(SALU_CYCLE_1) | instskip(NEXT) | instid1(SALU_CYCLE_1)
	s_bitset1_b32 s0, 10
	s_mov_b32 m0, s0
	s_sendmsg sendmsg(MSG_INTERRUPT)
	s_mov_b32 m0, ttmp2
.LBB6_1437:                             ; =>This Inner Loop Header: Depth=1
	s_sethalt 5
	s_branch .LBB6_1437
.LBB6_1438:
	s_trap 2
	s_sendmsg_rtn_b32 s0, sendmsg(MSG_RTN_GET_DOORBELL)
	s_mov_b32 ttmp2, m0
	s_waitcnt lgkmcnt(0)
	s_and_b32 s0, s0, 0x3ff
	s_delay_alu instid0(SALU_CYCLE_1) | instskip(NEXT) | instid1(SALU_CYCLE_1)
	s_bitset1_b32 s0, 10
	s_mov_b32 m0, s0
	s_sendmsg sendmsg(MSG_INTERRUPT)
	s_mov_b32 m0, ttmp2
.LBB6_1439:                             ; =>This Inner Loop Header: Depth=1
	s_sethalt 5
	s_branch .LBB6_1439
.LBB6_1440:
	s_trap 2
	s_sendmsg_rtn_b32 s0, sendmsg(MSG_RTN_GET_DOORBELL)
	s_mov_b32 ttmp2, m0
	s_waitcnt lgkmcnt(0)
	s_and_b32 s0, s0, 0x3ff
	s_delay_alu instid0(SALU_CYCLE_1) | instskip(NEXT) | instid1(SALU_CYCLE_1)
	s_bitset1_b32 s0, 10
	s_mov_b32 m0, s0
	s_sendmsg sendmsg(MSG_INTERRUPT)
	s_mov_b32 m0, ttmp2
.LBB6_1441:                             ; =>This Inner Loop Header: Depth=1
	s_sethalt 5
	s_branch .LBB6_1441
.LBB6_1442:                             ;   in Loop: Header=BB6_1446 Depth=1
	s_or_b32 exec_lo, exec_lo, s10
	v_mov_b32_e32 v4, 0
	s_or_not1_b32 s7, s7, exec_lo
.LBB6_1443:                             ;   in Loop: Header=BB6_1446 Depth=1
	s_or_b32 exec_lo, exec_lo, s6
	s_delay_alu instid0(VALU_DEP_1)
	v_mov_b32_e32 v0, v4
	s_and_b32 s6, s7, exec_lo
.LBB6_1444:                             ;   in Loop: Header=BB6_1446 Depth=1
	s_or_b32 exec_lo, exec_lo, s5
	s_xor_b32 s5, s6, -1
	s_and_not1_b32 s3, s3, exec_lo
	s_and_b32 s5, s5, exec_lo
	s_delay_alu instid0(SALU_CYCLE_1)
	s_or_b32 s3, s3, s5
.LBB6_1445:                             ;   in Loop: Header=BB6_1446 Depth=1
	s_or_b32 exec_lo, exec_lo, s4
	s_delay_alu instid0(SALU_CYCLE_1) | instskip(NEXT) | instid1(SALU_CYCLE_1)
	s_and_b32 s4, exec_lo, s3
	s_or_b32 s2, s4, s2
	s_delay_alu instid0(SALU_CYCLE_1)
	s_and_not1_b32 exec_lo, exec_lo, s2
	s_cbranch_execz .LBB6_1459
.LBB6_1446:                             ; =>This Inner Loop Header: Depth=1
	flat_load_b64 v[4:5], v[2:3] glc dlc
	s_waitcnt vmcnt(0)
	s_or_b32 s3, s3, exec_lo
	s_mov_b32 s4, exec_lo
	s_waitcnt lgkmcnt(0)
	v_cmpx_ne_u64_e32 -1, v[4:5]
	s_cbranch_execz .LBB6_1445
; %bb.1447:                             ;   in Loop: Header=BB6_1446 Depth=1
	v_and_b32_e32 v4, 64, v30
	s_mov_b32 s6, 0
	s_mov_b32 s5, exec_lo
	s_delay_alu instid0(VALU_DEP_1)
	v_cmpx_eq_u32_e32 0, v4
	s_cbranch_execz .LBB6_1444
; %bb.1448:                             ;   in Loop: Header=BB6_1446 Depth=1
	v_add_nc_u32_e32 v4, 1, v0
	s_mov_b32 s7, -1
	s_mov_b32 s6, exec_lo
	v_cmpx_lt_i32_e32 0x270e, v0
	s_cbranch_execz .LBB6_1443
; %bb.1449:                             ;   in Loop: Header=BB6_1446 Depth=1
	s_cbranch_execnz .LBB6_1453
; %bb.1450:                             ;   in Loop: Header=BB6_1446 Depth=1
	ds_load_b64 v[4:5], v0
	s_mov_b32 s10, exec_lo
	s_waitcnt lgkmcnt(0)
	s_waitcnt_vscnt null, 0x0
	flat_load_b32 v0, v[4:5] glc
	s_waitcnt vmcnt(0) lgkmcnt(0)
	buffer_gl1_inv
	buffer_gl0_inv
	v_cmpx_ne_u32_e32 0, v0
	s_cbranch_execz .LBB6_1442
; %bb.1451:                             ;   in Loop: Header=BB6_1446 Depth=1
	ds_store_b32 v0, v0
	s_cbranch_execnz .LBB6_1477
; %bb.1452:                             ;   in Loop: Header=BB6_1446 Depth=1
	v_or_b32_e32 v30, 64, v30
	s_xor_b32 s7, exec_lo, -1
	s_branch .LBB6_1442
.LBB6_1453:
	s_trap 2
	s_sendmsg_rtn_b32 s0, sendmsg(MSG_RTN_GET_DOORBELL)
	s_mov_b32 ttmp2, m0
	s_waitcnt lgkmcnt(0)
	s_and_b32 s0, s0, 0x3ff
	s_delay_alu instid0(SALU_CYCLE_1) | instskip(NEXT) | instid1(SALU_CYCLE_1)
	s_bitset1_b32 s0, 10
	s_mov_b32 m0, s0
	s_sendmsg sendmsg(MSG_INTERRUPT)
	s_mov_b32 m0, ttmp2
.LBB6_1454:                             ; =>This Inner Loop Header: Depth=1
	s_sethalt 5
	s_branch .LBB6_1454
.LBB6_1455:
	s_trap 2
	s_sendmsg_rtn_b32 s0, sendmsg(MSG_RTN_GET_DOORBELL)
	s_mov_b32 ttmp2, m0
	s_waitcnt lgkmcnt(0)
	s_and_b32 s0, s0, 0x3ff
	s_delay_alu instid0(SALU_CYCLE_1) | instskip(NEXT) | instid1(SALU_CYCLE_1)
	s_bitset1_b32 s0, 10
	s_mov_b32 m0, s0
	s_sendmsg sendmsg(MSG_INTERRUPT)
	s_mov_b32 m0, ttmp2
.LBB6_1456:                             ; =>This Inner Loop Header: Depth=1
	s_sethalt 5
	s_branch .LBB6_1456
.LBB6_1457:
	s_trap 2
	s_sendmsg_rtn_b32 s0, sendmsg(MSG_RTN_GET_DOORBELL)
	s_mov_b32 ttmp2, m0
	s_waitcnt lgkmcnt(0)
	s_and_b32 s0, s0, 0x3ff
	s_delay_alu instid0(SALU_CYCLE_1) | instskip(NEXT) | instid1(SALU_CYCLE_1)
	s_bitset1_b32 s0, 10
	s_mov_b32 m0, s0
	s_sendmsg sendmsg(MSG_INTERRUPT)
	s_mov_b32 m0, ttmp2
.LBB6_1458:                             ; =>This Inner Loop Header: Depth=1
	s_sethalt 5
	s_branch .LBB6_1458
.LBB6_1459:
	s_or_b32 exec_lo, exec_lo, s2
.LBB6_1460:
	s_delay_alu instid0(SALU_CYCLE_1) | instskip(SKIP_2) | instid1(VALU_DEP_1)
	s_or_b32 exec_lo, exec_lo, s1
	v_and_b32_e32 v0, 0x2000, v30
	s_mov_b32 s1, exec_lo
	v_cmpx_ne_u32_e32 0, v0
	s_cbranch_execz .LBB6_1463
; %bb.1461:
	s_cbranch_execnz .LBB6_1471
; %bb.1462:
	ds_load_b64 v[2:3], v0
	s_waitcnt lgkmcnt(0)
	flat_store_b64 v[16:17], v[2:3] offset:16
.LBB6_1463:
	s_or_b32 exec_lo, exec_lo, s1
	v_cmp_ne_u32_e32 vcc_lo, 32, v1
	s_and_b32 exec_lo, exec_lo, vcc_lo
	s_cbranch_execz .LBB6_1664
; %bb.1464:
	s_mov_b32 s1, exec_lo
	v_cmpx_ne_u32_e64 v80, v1
	s_xor_b32 s1, exec_lo, s1
	s_cbranch_execz .LBB6_1662
; %bb.1465:
	v_and_b32_e32 v0, 31, v31
	s_mov_b32 s2, exec_lo
	s_delay_alu instid0(VALU_DEP_1)
	v_cmpx_eq_u32_e32 0, v0
	s_cbranch_execz .LBB6_1661
; %bb.1466:
	s_mov_b32 s4, exec_lo
	s_mov_b32 s3, exec_lo
	v_mbcnt_lo_u32_b32 v0, s4, 0
	s_waitcnt lgkmcnt(0)
	s_waitcnt_vscnt null, 0x0
	buffer_gl1_inv
	buffer_gl0_inv
	v_cmpx_eq_u32_e32 0, v0
	s_cbranch_execz .LBB6_1468
; %bb.1467:
	s_bcnt1_i32_b32 s4, s4
	s_delay_alu instid0(SALU_CYCLE_1)
	v_dual_mov_b32 v3, 0 :: v_dual_mov_b32 v2, s4
	ds_add_u64 v0, v[2:3]
	s_cbranch_execnz .LBB6_1506
.LBB6_1468:
	s_or_b32 exec_lo, exec_lo, s3
	s_cbranch_execnz .LBB6_1485
; %bb.1469:
	v_ashrrev_i32_e32 v0, 31, v1
	s_mov_b32 s3, exec_lo
	s_delay_alu instid0(VALU_DEP_1) | instskip(NEXT) | instid1(VALU_DEP_1)
	v_lshrrev_b32_e32 v0, 27, v0
	v_add_nc_u32_e32 v0, v1, v0
	ds_load_b64 v[2:3], v0
	v_ashrrev_i32_e32 v0, 5, v0
	s_delay_alu instid0(VALU_DEP_1) | instskip(SKIP_1) | instid1(VALU_DEP_2)
	v_ashrrev_i32_e32 v1, 31, v0
	v_add_co_u32 v0, vcc_lo, v12, v0
	v_add_co_ci_u32_e32 v1, vcc_lo, v13, v1, vcc_lo
	s_waitcnt lgkmcnt(0)
	s_delay_alu instid0(VALU_DEP_1)
	v_cmpx_lt_u64_e64 v[2:3], v[0:1]
	s_cbranch_execz .LBB6_1660
; %bb.1470:
	s_mov_b32 s4, 0
	s_mov_b32 s7, 0
                                        ; implicit-def: $sgpr5
                                        ; implicit-def: $sgpr6
	s_branch .LBB6_1492
.LBB6_1471:
	s_trap 2
	s_sendmsg_rtn_b32 s0, sendmsg(MSG_RTN_GET_DOORBELL)
	s_mov_b32 ttmp2, m0
	s_waitcnt lgkmcnt(0)
	s_and_b32 s0, s0, 0x3ff
	s_delay_alu instid0(SALU_CYCLE_1) | instskip(NEXT) | instid1(SALU_CYCLE_1)
	s_bitset1_b32 s0, 10
	s_mov_b32 m0, s0
	s_sendmsg sendmsg(MSG_INTERRUPT)
	s_mov_b32 m0, ttmp2
.LBB6_1472:                             ; =>This Inner Loop Header: Depth=1
	s_sethalt 5
	s_branch .LBB6_1472
.LBB6_1473:
	s_trap 2
	s_sendmsg_rtn_b32 s0, sendmsg(MSG_RTN_GET_DOORBELL)
	s_mov_b32 ttmp2, m0
	s_waitcnt lgkmcnt(0)
	s_and_b32 s0, s0, 0x3ff
	s_delay_alu instid0(SALU_CYCLE_1) | instskip(NEXT) | instid1(SALU_CYCLE_1)
	s_bitset1_b32 s0, 10
	s_mov_b32 m0, s0
	s_sendmsg sendmsg(MSG_INTERRUPT)
	s_mov_b32 m0, ttmp2
.LBB6_1474:                             ; =>This Inner Loop Header: Depth=1
	s_sethalt 5
	s_branch .LBB6_1474
.LBB6_1475:
	s_trap 2
	s_sendmsg_rtn_b32 s0, sendmsg(MSG_RTN_GET_DOORBELL)
	s_mov_b32 ttmp2, m0
	s_waitcnt lgkmcnt(0)
	s_and_b32 s0, s0, 0x3ff
	s_delay_alu instid0(SALU_CYCLE_1) | instskip(NEXT) | instid1(SALU_CYCLE_1)
	s_bitset1_b32 s0, 10
	s_mov_b32 m0, s0
	s_sendmsg sendmsg(MSG_INTERRUPT)
	s_mov_b32 m0, ttmp2
.LBB6_1476:                             ; =>This Inner Loop Header: Depth=1
	s_sethalt 5
	s_branch .LBB6_1476
.LBB6_1477:
	s_trap 2
	s_sendmsg_rtn_b32 s0, sendmsg(MSG_RTN_GET_DOORBELL)
	s_mov_b32 ttmp2, m0
	s_waitcnt lgkmcnt(0)
	s_and_b32 s0, s0, 0x3ff
	s_delay_alu instid0(SALU_CYCLE_1) | instskip(NEXT) | instid1(SALU_CYCLE_1)
	s_bitset1_b32 s0, 10
	s_mov_b32 m0, s0
	s_sendmsg sendmsg(MSG_INTERRUPT)
	s_mov_b32 m0, ttmp2
.LBB6_1478:                             ; =>This Inner Loop Header: Depth=1
	s_sethalt 5
	s_branch .LBB6_1478
.LBB6_1479:
	s_trap 2
	s_sendmsg_rtn_b32 s0, sendmsg(MSG_RTN_GET_DOORBELL)
	s_mov_b32 ttmp2, m0
	s_waitcnt lgkmcnt(0)
	s_and_b32 s0, s0, 0x3ff
	s_delay_alu instid0(SALU_CYCLE_1) | instskip(NEXT) | instid1(SALU_CYCLE_1)
	s_bitset1_b32 s0, 10
	s_mov_b32 m0, s0
	s_sendmsg sendmsg(MSG_INTERRUPT)
	s_mov_b32 m0, ttmp2
.LBB6_1480:                             ; =>This Inner Loop Header: Depth=1
	s_sethalt 5
	s_branch .LBB6_1480
.LBB6_1481:
	s_trap 2
	s_sendmsg_rtn_b32 s0, sendmsg(MSG_RTN_GET_DOORBELL)
	s_mov_b32 ttmp2, m0
	s_waitcnt lgkmcnt(0)
	s_and_b32 s0, s0, 0x3ff
	s_delay_alu instid0(SALU_CYCLE_1) | instskip(NEXT) | instid1(SALU_CYCLE_1)
	s_bitset1_b32 s0, 10
	s_mov_b32 m0, s0
	s_sendmsg sendmsg(MSG_INTERRUPT)
	s_mov_b32 m0, ttmp2
.LBB6_1482:                             ; =>This Inner Loop Header: Depth=1
	s_sethalt 5
	s_branch .LBB6_1482
.LBB6_1483:
	s_trap 2
	s_sendmsg_rtn_b32 s0, sendmsg(MSG_RTN_GET_DOORBELL)
	s_mov_b32 ttmp2, m0
	s_waitcnt lgkmcnt(0)
	s_and_b32 s0, s0, 0x3ff
	s_delay_alu instid0(SALU_CYCLE_1) | instskip(NEXT) | instid1(SALU_CYCLE_1)
	s_bitset1_b32 s0, 10
	s_mov_b32 m0, s0
	s_sendmsg sendmsg(MSG_INTERRUPT)
	s_mov_b32 m0, ttmp2
.LBB6_1484:                             ; =>This Inner Loop Header: Depth=1
	s_sethalt 5
	s_branch .LBB6_1484
.LBB6_1485:
	s_trap 2
	s_sendmsg_rtn_b32 s0, sendmsg(MSG_RTN_GET_DOORBELL)
	s_mov_b32 ttmp2, m0
	s_waitcnt lgkmcnt(0)
	s_and_b32 s0, s0, 0x3ff
	s_delay_alu instid0(SALU_CYCLE_1) | instskip(NEXT) | instid1(SALU_CYCLE_1)
	s_bitset1_b32 s0, 10
	s_mov_b32 m0, s0
	s_sendmsg sendmsg(MSG_INTERRUPT)
	s_mov_b32 m0, ttmp2
.LBB6_1486:                             ; =>This Inner Loop Header: Depth=1
	s_sethalt 5
	s_branch .LBB6_1486
.LBB6_1487:
	s_trap 2
	s_sendmsg_rtn_b32 s0, sendmsg(MSG_RTN_GET_DOORBELL)
	s_mov_b32 ttmp2, m0
	s_waitcnt lgkmcnt(0)
	s_and_b32 s0, s0, 0x3ff
	s_delay_alu instid0(SALU_CYCLE_1) | instskip(NEXT) | instid1(SALU_CYCLE_1)
	s_bitset1_b32 s0, 10
	s_mov_b32 m0, s0
	s_sendmsg sendmsg(MSG_INTERRUPT)
	s_mov_b32 m0, ttmp2
.LBB6_1488:                             ; =>This Inner Loop Header: Depth=1
	s_sethalt 5
	s_branch .LBB6_1488
.LBB6_1489:
	s_trap 2
	s_sendmsg_rtn_b32 s0, sendmsg(MSG_RTN_GET_DOORBELL)
	s_mov_b32 ttmp2, m0
	s_waitcnt lgkmcnt(0)
	s_and_b32 s0, s0, 0x3ff
	s_delay_alu instid0(SALU_CYCLE_1) | instskip(NEXT) | instid1(SALU_CYCLE_1)
	s_bitset1_b32 s0, 10
	s_mov_b32 m0, s0
	s_sendmsg sendmsg(MSG_INTERRUPT)
	s_mov_b32 m0, ttmp2
.LBB6_1490:                             ; =>This Inner Loop Header: Depth=1
	s_sethalt 5
	s_branch .LBB6_1490
.LBB6_1491:                             ;   in Loop: Header=BB6_1492 Depth=1
	s_or_b32 exec_lo, exec_lo, s12
	s_delay_alu instid0(SALU_CYCLE_1) | instskip(NEXT) | instid1(SALU_CYCLE_1)
	s_and_b32 s10, exec_lo, s11
	s_or_b32 s4, s10, s4
	s_and_not1_b32 s5, s5, exec_lo
	s_and_b32 s10, s6, exec_lo
	s_delay_alu instid0(SALU_CYCLE_1)
	s_or_b32 s5, s5, s10
	s_and_not1_b32 exec_lo, exec_lo, s4
	s_cbranch_execz .LBB6_1658
.LBB6_1492:                             ; =>This Inner Loop Header: Depth=1
	s_add_i32 s7, s7, 1
                                        ; implicit-def: $sgpr11
	s_delay_alu instid0(SALU_CYCLE_1) | instskip(SKIP_1) | instid1(SALU_CYCLE_1)
	s_cmpk_lg_i32 s7, 0x2710
	s_cselect_b32 s10, -1, 0
	s_and_b32 vcc_lo, exec_lo, s10
	s_cbranch_vccz .LBB6_1496
.LBB6_1493:                             ;   in Loop: Header=BB6_1492 Depth=1
	s_and_not1_b32 s6, s6, exec_lo
	s_and_b32 s12, s11, exec_lo
	s_mov_b32 s11, -1
	s_or_b32 s6, s6, s12
	s_and_saveexec_b32 s12, s10
	s_cbranch_execz .LBB6_1491
; %bb.1494:                             ;   in Loop: Header=BB6_1492 Depth=1
	s_sleep 1
	s_cbranch_execnz .LBB6_1544
; %bb.1495:                             ;   in Loop: Header=BB6_1492 Depth=1
	ds_load_b64 v[2:3], v0
	s_and_not1_b32 s6, s6, exec_lo
	s_waitcnt lgkmcnt(0)
	v_cmp_ge_u64_e32 vcc_lo, v[2:3], v[0:1]
	s_or_not1_b32 s11, vcc_lo, exec_lo
	s_branch .LBB6_1491
.LBB6_1496:                             ;   in Loop: Header=BB6_1492 Depth=1
	s_cbranch_execnz .LBB6_1546
; %bb.1497:                             ;   in Loop: Header=BB6_1492 Depth=1
	ds_load_b64 v[2:3], v0
	s_and_not1_b32 s10, s10, exec_lo
	s_mov_b32 s7, 0
	s_mov_b32 s11, -1
	s_waitcnt lgkmcnt(0)
	flat_load_b32 v2, v[2:3] glc
	s_waitcnt vmcnt(0) lgkmcnt(0)
	buffer_gl1_inv
	buffer_gl0_inv
	v_cmp_eq_u32_e32 vcc_lo, 0, v2
	s_and_b32 s12, vcc_lo, exec_lo
	s_delay_alu instid0(SALU_CYCLE_1)
	s_or_b32 s10, s10, s12
	s_branch .LBB6_1493
.LBB6_1498:
	s_trap 2
	s_sendmsg_rtn_b32 s0, sendmsg(MSG_RTN_GET_DOORBELL)
	s_mov_b32 ttmp2, m0
	s_waitcnt lgkmcnt(0)
	s_and_b32 s0, s0, 0x3ff
	s_delay_alu instid0(SALU_CYCLE_1) | instskip(NEXT) | instid1(SALU_CYCLE_1)
	s_bitset1_b32 s0, 10
	s_mov_b32 m0, s0
	s_sendmsg sendmsg(MSG_INTERRUPT)
	s_mov_b32 m0, ttmp2
.LBB6_1499:                             ; =>This Inner Loop Header: Depth=1
	s_sethalt 5
	s_branch .LBB6_1499
.LBB6_1500:
	s_trap 2
	s_sendmsg_rtn_b32 s0, sendmsg(MSG_RTN_GET_DOORBELL)
	s_mov_b32 ttmp2, m0
	s_waitcnt lgkmcnt(0)
	s_and_b32 s0, s0, 0x3ff
	s_delay_alu instid0(SALU_CYCLE_1) | instskip(NEXT) | instid1(SALU_CYCLE_1)
	s_bitset1_b32 s0, 10
	s_mov_b32 m0, s0
	s_sendmsg sendmsg(MSG_INTERRUPT)
	s_mov_b32 m0, ttmp2
.LBB6_1501:                             ; =>This Inner Loop Header: Depth=1
	s_sethalt 5
	s_branch .LBB6_1501
.LBB6_1502:
	s_trap 2
	s_sendmsg_rtn_b32 s0, sendmsg(MSG_RTN_GET_DOORBELL)
	s_mov_b32 ttmp2, m0
	s_waitcnt lgkmcnt(0)
	s_and_b32 s0, s0, 0x3ff
	s_delay_alu instid0(SALU_CYCLE_1) | instskip(NEXT) | instid1(SALU_CYCLE_1)
	s_bitset1_b32 s0, 10
	s_mov_b32 m0, s0
	s_sendmsg sendmsg(MSG_INTERRUPT)
	s_mov_b32 m0, ttmp2
.LBB6_1503:                             ; =>This Inner Loop Header: Depth=1
	s_sethalt 5
	s_branch .LBB6_1503
.LBB6_1504:
	s_trap 2
	s_sendmsg_rtn_b32 s0, sendmsg(MSG_RTN_GET_DOORBELL)
	s_mov_b32 ttmp2, m0
	s_waitcnt lgkmcnt(0)
	s_and_b32 s0, s0, 0x3ff
	s_delay_alu instid0(SALU_CYCLE_1) | instskip(NEXT) | instid1(SALU_CYCLE_1)
	s_bitset1_b32 s0, 10
	s_mov_b32 m0, s0
	s_sendmsg sendmsg(MSG_INTERRUPT)
	s_mov_b32 m0, ttmp2
.LBB6_1505:                             ; =>This Inner Loop Header: Depth=1
	s_sethalt 5
	s_branch .LBB6_1505
.LBB6_1506:
	s_trap 2
	s_sendmsg_rtn_b32 s0, sendmsg(MSG_RTN_GET_DOORBELL)
	s_mov_b32 ttmp2, m0
	s_waitcnt lgkmcnt(0)
	s_and_b32 s0, s0, 0x3ff
	s_delay_alu instid0(SALU_CYCLE_1) | instskip(NEXT) | instid1(SALU_CYCLE_1)
	s_bitset1_b32 s0, 10
	s_mov_b32 m0, s0
	s_sendmsg sendmsg(MSG_INTERRUPT)
	s_mov_b32 m0, ttmp2
.LBB6_1507:                             ; =>This Inner Loop Header: Depth=1
	s_sethalt 5
	s_branch .LBB6_1507
.LBB6_1508:
	s_trap 2
	s_sendmsg_rtn_b32 s0, sendmsg(MSG_RTN_GET_DOORBELL)
	s_mov_b32 ttmp2, m0
	s_waitcnt lgkmcnt(0)
	s_and_b32 s0, s0, 0x3ff
	s_delay_alu instid0(SALU_CYCLE_1) | instskip(NEXT) | instid1(SALU_CYCLE_1)
	s_bitset1_b32 s0, 10
	s_mov_b32 m0, s0
	s_sendmsg sendmsg(MSG_INTERRUPT)
	s_mov_b32 m0, ttmp2
.LBB6_1509:                             ; =>This Inner Loop Header: Depth=1
	s_sethalt 5
	s_branch .LBB6_1509
.LBB6_1510:
	s_trap 2
	s_sendmsg_rtn_b32 s0, sendmsg(MSG_RTN_GET_DOORBELL)
	s_mov_b32 ttmp2, m0
	s_waitcnt lgkmcnt(0)
	s_and_b32 s0, s0, 0x3ff
	s_delay_alu instid0(SALU_CYCLE_1) | instskip(NEXT) | instid1(SALU_CYCLE_1)
	s_bitset1_b32 s0, 10
	s_mov_b32 m0, s0
	s_sendmsg sendmsg(MSG_INTERRUPT)
	s_mov_b32 m0, ttmp2
.LBB6_1511:                             ; =>This Inner Loop Header: Depth=1
	s_sethalt 5
	s_branch .LBB6_1511
.LBB6_1512:
	s_trap 2
	s_sendmsg_rtn_b32 s0, sendmsg(MSG_RTN_GET_DOORBELL)
	s_mov_b32 ttmp2, m0
	s_waitcnt lgkmcnt(0)
	s_and_b32 s0, s0, 0x3ff
	s_delay_alu instid0(SALU_CYCLE_1) | instskip(NEXT) | instid1(SALU_CYCLE_1)
	s_bitset1_b32 s0, 10
	s_mov_b32 m0, s0
	s_sendmsg sendmsg(MSG_INTERRUPT)
	s_mov_b32 m0, ttmp2
.LBB6_1513:                             ; =>This Inner Loop Header: Depth=1
	s_sethalt 5
	s_branch .LBB6_1513
.LBB6_1514:
	s_trap 2
	s_sendmsg_rtn_b32 s0, sendmsg(MSG_RTN_GET_DOORBELL)
	s_mov_b32 ttmp2, m0
	s_waitcnt lgkmcnt(0)
	s_and_b32 s0, s0, 0x3ff
	s_delay_alu instid0(SALU_CYCLE_1) | instskip(NEXT) | instid1(SALU_CYCLE_1)
	s_bitset1_b32 s0, 10
	s_mov_b32 m0, s0
	s_sendmsg sendmsg(MSG_INTERRUPT)
	s_mov_b32 m0, ttmp2
.LBB6_1515:                             ; =>This Inner Loop Header: Depth=1
	s_sethalt 5
	s_branch .LBB6_1515
.LBB6_1516:
	s_trap 2
	s_sendmsg_rtn_b32 s0, sendmsg(MSG_RTN_GET_DOORBELL)
	s_mov_b32 ttmp2, m0
	s_waitcnt lgkmcnt(0)
	s_and_b32 s0, s0, 0x3ff
	s_delay_alu instid0(SALU_CYCLE_1) | instskip(NEXT) | instid1(SALU_CYCLE_1)
	s_bitset1_b32 s0, 10
	s_mov_b32 m0, s0
	s_sendmsg sendmsg(MSG_INTERRUPT)
	s_mov_b32 m0, ttmp2
.LBB6_1517:                             ; =>This Inner Loop Header: Depth=1
	s_sethalt 5
	s_branch .LBB6_1517
.LBB6_1518:
	s_trap 2
	s_sendmsg_rtn_b32 s0, sendmsg(MSG_RTN_GET_DOORBELL)
	s_mov_b32 ttmp2, m0
	s_waitcnt lgkmcnt(0)
	s_and_b32 s0, s0, 0x3ff
	s_delay_alu instid0(SALU_CYCLE_1) | instskip(NEXT) | instid1(SALU_CYCLE_1)
	s_bitset1_b32 s0, 10
	s_mov_b32 m0, s0
	s_sendmsg sendmsg(MSG_INTERRUPT)
	s_mov_b32 m0, ttmp2
.LBB6_1519:                             ; =>This Inner Loop Header: Depth=1
	s_sethalt 5
	s_branch .LBB6_1519
.LBB6_1520:
	s_trap 2
	s_sendmsg_rtn_b32 s0, sendmsg(MSG_RTN_GET_DOORBELL)
	s_mov_b32 ttmp2, m0
	s_waitcnt lgkmcnt(0)
	s_and_b32 s0, s0, 0x3ff
	s_delay_alu instid0(SALU_CYCLE_1) | instskip(NEXT) | instid1(SALU_CYCLE_1)
	s_bitset1_b32 s0, 10
	s_mov_b32 m0, s0
	s_sendmsg sendmsg(MSG_INTERRUPT)
	s_mov_b32 m0, ttmp2
.LBB6_1521:                             ; =>This Inner Loop Header: Depth=1
	s_sethalt 5
	s_branch .LBB6_1521
.LBB6_1522:
	s_trap 2
	s_sendmsg_rtn_b32 s0, sendmsg(MSG_RTN_GET_DOORBELL)
	s_mov_b32 ttmp2, m0
	s_waitcnt lgkmcnt(0)
	s_and_b32 s0, s0, 0x3ff
	s_delay_alu instid0(SALU_CYCLE_1) | instskip(NEXT) | instid1(SALU_CYCLE_1)
	s_bitset1_b32 s0, 10
	s_mov_b32 m0, s0
	s_sendmsg sendmsg(MSG_INTERRUPT)
	s_mov_b32 m0, ttmp2
.LBB6_1523:                             ; =>This Inner Loop Header: Depth=1
	s_sethalt 5
	s_branch .LBB6_1523
.LBB6_1524:
	s_trap 2
	s_sendmsg_rtn_b32 s0, sendmsg(MSG_RTN_GET_DOORBELL)
	s_mov_b32 ttmp2, m0
	s_waitcnt lgkmcnt(0)
	s_and_b32 s0, s0, 0x3ff
	s_delay_alu instid0(SALU_CYCLE_1) | instskip(NEXT) | instid1(SALU_CYCLE_1)
	s_bitset1_b32 s0, 10
	s_mov_b32 m0, s0
	s_sendmsg sendmsg(MSG_INTERRUPT)
	s_mov_b32 m0, ttmp2
.LBB6_1525:                             ; =>This Inner Loop Header: Depth=1
	s_sethalt 5
	s_branch .LBB6_1525
.LBB6_1526:
	s_trap 2
	s_sendmsg_rtn_b32 s0, sendmsg(MSG_RTN_GET_DOORBELL)
	s_mov_b32 ttmp2, m0
	s_waitcnt lgkmcnt(0)
	s_and_b32 s0, s0, 0x3ff
	s_delay_alu instid0(SALU_CYCLE_1) | instskip(NEXT) | instid1(SALU_CYCLE_1)
	s_bitset1_b32 s0, 10
	s_mov_b32 m0, s0
	s_sendmsg sendmsg(MSG_INTERRUPT)
	s_mov_b32 m0, ttmp2
.LBB6_1527:                             ; =>This Inner Loop Header: Depth=1
	s_sethalt 5
	s_branch .LBB6_1527
.LBB6_1528:
	s_trap 2
	s_sendmsg_rtn_b32 s0, sendmsg(MSG_RTN_GET_DOORBELL)
	s_mov_b32 ttmp2, m0
	s_waitcnt lgkmcnt(0)
	s_and_b32 s0, s0, 0x3ff
	s_delay_alu instid0(SALU_CYCLE_1) | instskip(NEXT) | instid1(SALU_CYCLE_1)
	s_bitset1_b32 s0, 10
	s_mov_b32 m0, s0
	s_sendmsg sendmsg(MSG_INTERRUPT)
	s_mov_b32 m0, ttmp2
.LBB6_1529:                             ; =>This Inner Loop Header: Depth=1
	s_sethalt 5
	s_branch .LBB6_1529
.LBB6_1530:
	s_trap 2
	s_sendmsg_rtn_b32 s0, sendmsg(MSG_RTN_GET_DOORBELL)
	s_mov_b32 ttmp2, m0
	s_waitcnt lgkmcnt(0)
	s_and_b32 s0, s0, 0x3ff
	s_delay_alu instid0(SALU_CYCLE_1) | instskip(NEXT) | instid1(SALU_CYCLE_1)
	s_bitset1_b32 s0, 10
	s_mov_b32 m0, s0
	s_sendmsg sendmsg(MSG_INTERRUPT)
	s_mov_b32 m0, ttmp2
.LBB6_1531:                             ; =>This Inner Loop Header: Depth=1
	s_sethalt 5
	s_branch .LBB6_1531
.LBB6_1532:
	s_trap 2
	s_sendmsg_rtn_b32 s0, sendmsg(MSG_RTN_GET_DOORBELL)
	s_mov_b32 ttmp2, m0
	s_waitcnt lgkmcnt(0)
	s_and_b32 s0, s0, 0x3ff
	s_delay_alu instid0(SALU_CYCLE_1) | instskip(NEXT) | instid1(SALU_CYCLE_1)
	s_bitset1_b32 s0, 10
	s_mov_b32 m0, s0
	s_sendmsg sendmsg(MSG_INTERRUPT)
	s_mov_b32 m0, ttmp2
.LBB6_1533:                             ; =>This Inner Loop Header: Depth=1
	s_sethalt 5
	s_branch .LBB6_1533
.LBB6_1534:
	s_trap 2
	s_sendmsg_rtn_b32 s0, sendmsg(MSG_RTN_GET_DOORBELL)
	s_mov_b32 ttmp2, m0
	s_waitcnt lgkmcnt(0)
	s_and_b32 s0, s0, 0x3ff
	s_delay_alu instid0(SALU_CYCLE_1) | instskip(NEXT) | instid1(SALU_CYCLE_1)
	s_bitset1_b32 s0, 10
	s_mov_b32 m0, s0
	s_sendmsg sendmsg(MSG_INTERRUPT)
	s_mov_b32 m0, ttmp2
.LBB6_1535:                             ; =>This Inner Loop Header: Depth=1
	s_sethalt 5
	s_branch .LBB6_1535
.LBB6_1536:
	s_trap 2
	s_sendmsg_rtn_b32 s0, sendmsg(MSG_RTN_GET_DOORBELL)
	s_mov_b32 ttmp2, m0
	s_waitcnt lgkmcnt(0)
	s_and_b32 s0, s0, 0x3ff
	s_delay_alu instid0(SALU_CYCLE_1) | instskip(NEXT) | instid1(SALU_CYCLE_1)
	s_bitset1_b32 s0, 10
	s_mov_b32 m0, s0
	s_sendmsg sendmsg(MSG_INTERRUPT)
	s_mov_b32 m0, ttmp2
.LBB6_1537:                             ; =>This Inner Loop Header: Depth=1
	s_sethalt 5
	s_branch .LBB6_1537
.LBB6_1538:
	s_trap 2
	s_sendmsg_rtn_b32 s0, sendmsg(MSG_RTN_GET_DOORBELL)
	s_mov_b32 ttmp2, m0
	s_waitcnt lgkmcnt(0)
	s_and_b32 s0, s0, 0x3ff
	s_delay_alu instid0(SALU_CYCLE_1) | instskip(NEXT) | instid1(SALU_CYCLE_1)
	s_bitset1_b32 s0, 10
	s_mov_b32 m0, s0
	s_sendmsg sendmsg(MSG_INTERRUPT)
	s_mov_b32 m0, ttmp2
.LBB6_1539:                             ; =>This Inner Loop Header: Depth=1
	s_sethalt 5
	s_branch .LBB6_1539
.LBB6_1540:
	s_trap 2
	s_sendmsg_rtn_b32 s0, sendmsg(MSG_RTN_GET_DOORBELL)
	s_mov_b32 ttmp2, m0
	s_waitcnt lgkmcnt(0)
	s_and_b32 s0, s0, 0x3ff
	s_delay_alu instid0(SALU_CYCLE_1) | instskip(NEXT) | instid1(SALU_CYCLE_1)
	s_bitset1_b32 s0, 10
	s_mov_b32 m0, s0
	s_sendmsg sendmsg(MSG_INTERRUPT)
	s_mov_b32 m0, ttmp2
.LBB6_1541:                             ; =>This Inner Loop Header: Depth=1
	s_sethalt 5
	s_branch .LBB6_1541
.LBB6_1542:
	s_trap 2
	s_sendmsg_rtn_b32 s0, sendmsg(MSG_RTN_GET_DOORBELL)
	s_mov_b32 ttmp2, m0
	s_waitcnt lgkmcnt(0)
	s_and_b32 s0, s0, 0x3ff
	s_delay_alu instid0(SALU_CYCLE_1) | instskip(NEXT) | instid1(SALU_CYCLE_1)
	s_bitset1_b32 s0, 10
	s_mov_b32 m0, s0
	s_sendmsg sendmsg(MSG_INTERRUPT)
	s_mov_b32 m0, ttmp2
.LBB6_1543:                             ; =>This Inner Loop Header: Depth=1
	s_sethalt 5
	s_branch .LBB6_1543
.LBB6_1544:
	s_trap 2
	s_sendmsg_rtn_b32 s0, sendmsg(MSG_RTN_GET_DOORBELL)
	s_mov_b32 ttmp2, m0
	s_waitcnt lgkmcnt(0)
	s_and_b32 s0, s0, 0x3ff
	s_delay_alu instid0(SALU_CYCLE_1) | instskip(NEXT) | instid1(SALU_CYCLE_1)
	s_bitset1_b32 s0, 10
	s_mov_b32 m0, s0
	s_sendmsg sendmsg(MSG_INTERRUPT)
	s_mov_b32 m0, ttmp2
.LBB6_1545:                             ; =>This Inner Loop Header: Depth=1
	s_sethalt 5
	s_branch .LBB6_1545
.LBB6_1546:
	s_trap 2
	s_sendmsg_rtn_b32 s0, sendmsg(MSG_RTN_GET_DOORBELL)
	s_mov_b32 ttmp2, m0
	s_waitcnt lgkmcnt(0)
	s_and_b32 s0, s0, 0x3ff
	s_delay_alu instid0(SALU_CYCLE_1) | instskip(NEXT) | instid1(SALU_CYCLE_1)
	s_bitset1_b32 s0, 10
	s_mov_b32 m0, s0
	s_sendmsg sendmsg(MSG_INTERRUPT)
	s_mov_b32 m0, ttmp2
.LBB6_1547:                             ; =>This Inner Loop Header: Depth=1
	s_sethalt 5
	s_branch .LBB6_1547
.LBB6_1548:
	s_trap 2
	s_sendmsg_rtn_b32 s0, sendmsg(MSG_RTN_GET_DOORBELL)
	s_mov_b32 ttmp2, m0
	s_waitcnt lgkmcnt(0)
	s_and_b32 s0, s0, 0x3ff
	s_delay_alu instid0(SALU_CYCLE_1) | instskip(NEXT) | instid1(SALU_CYCLE_1)
	s_bitset1_b32 s0, 10
	s_mov_b32 m0, s0
	s_sendmsg sendmsg(MSG_INTERRUPT)
	s_mov_b32 m0, ttmp2
.LBB6_1549:                             ; =>This Inner Loop Header: Depth=1
	s_sethalt 5
	s_branch .LBB6_1549
.LBB6_1550:
	s_trap 2
	s_sendmsg_rtn_b32 s0, sendmsg(MSG_RTN_GET_DOORBELL)
	s_mov_b32 ttmp2, m0
	s_waitcnt lgkmcnt(0)
	s_and_b32 s0, s0, 0x3ff
	s_delay_alu instid0(SALU_CYCLE_1) | instskip(NEXT) | instid1(SALU_CYCLE_1)
	s_bitset1_b32 s0, 10
	s_mov_b32 m0, s0
	s_sendmsg sendmsg(MSG_INTERRUPT)
	s_mov_b32 m0, ttmp2
.LBB6_1551:                             ; =>This Inner Loop Header: Depth=1
	s_sethalt 5
	s_branch .LBB6_1551
.LBB6_1552:
	s_trap 2
	s_sendmsg_rtn_b32 s0, sendmsg(MSG_RTN_GET_DOORBELL)
	s_mov_b32 ttmp2, m0
	s_waitcnt lgkmcnt(0)
	s_and_b32 s0, s0, 0x3ff
	s_delay_alu instid0(SALU_CYCLE_1) | instskip(NEXT) | instid1(SALU_CYCLE_1)
	s_bitset1_b32 s0, 10
	s_mov_b32 m0, s0
	s_sendmsg sendmsg(MSG_INTERRUPT)
	s_mov_b32 m0, ttmp2
.LBB6_1553:                             ; =>This Inner Loop Header: Depth=1
	s_sethalt 5
	s_branch .LBB6_1553
.LBB6_1554:
	s_trap 2
	s_sendmsg_rtn_b32 s0, sendmsg(MSG_RTN_GET_DOORBELL)
	s_mov_b32 ttmp2, m0
	s_waitcnt lgkmcnt(0)
	s_and_b32 s0, s0, 0x3ff
	s_delay_alu instid0(SALU_CYCLE_1) | instskip(NEXT) | instid1(SALU_CYCLE_1)
	s_bitset1_b32 s0, 10
	s_mov_b32 m0, s0
	s_sendmsg sendmsg(MSG_INTERRUPT)
	s_mov_b32 m0, ttmp2
.LBB6_1555:                             ; =>This Inner Loop Header: Depth=1
	s_sethalt 5
	s_branch .LBB6_1555
.LBB6_1556:
	s_trap 2
	s_sendmsg_rtn_b32 s0, sendmsg(MSG_RTN_GET_DOORBELL)
	s_mov_b32 ttmp2, m0
	s_waitcnt lgkmcnt(0)
	s_and_b32 s0, s0, 0x3ff
	s_delay_alu instid0(SALU_CYCLE_1) | instskip(NEXT) | instid1(SALU_CYCLE_1)
	s_bitset1_b32 s0, 10
	s_mov_b32 m0, s0
	s_sendmsg sendmsg(MSG_INTERRUPT)
	s_mov_b32 m0, ttmp2
.LBB6_1557:                             ; =>This Inner Loop Header: Depth=1
	s_sethalt 5
	s_branch .LBB6_1557
.LBB6_1558:
	s_trap 2
	s_sendmsg_rtn_b32 s0, sendmsg(MSG_RTN_GET_DOORBELL)
	s_mov_b32 ttmp2, m0
	s_waitcnt lgkmcnt(0)
	s_and_b32 s0, s0, 0x3ff
	s_delay_alu instid0(SALU_CYCLE_1) | instskip(NEXT) | instid1(SALU_CYCLE_1)
	s_bitset1_b32 s0, 10
	s_mov_b32 m0, s0
	s_sendmsg sendmsg(MSG_INTERRUPT)
	s_mov_b32 m0, ttmp2
.LBB6_1559:                             ; =>This Inner Loop Header: Depth=1
	s_sethalt 5
	s_branch .LBB6_1559
.LBB6_1560:
	s_trap 2
	s_sendmsg_rtn_b32 s0, sendmsg(MSG_RTN_GET_DOORBELL)
	s_mov_b32 ttmp2, m0
	s_waitcnt lgkmcnt(0)
	s_and_b32 s0, s0, 0x3ff
	s_delay_alu instid0(SALU_CYCLE_1) | instskip(NEXT) | instid1(SALU_CYCLE_1)
	s_bitset1_b32 s0, 10
	s_mov_b32 m0, s0
	s_sendmsg sendmsg(MSG_INTERRUPT)
	s_mov_b32 m0, ttmp2
.LBB6_1561:                             ; =>This Inner Loop Header: Depth=1
	s_sethalt 5
	s_branch .LBB6_1561
.LBB6_1562:
	s_trap 2
	s_sendmsg_rtn_b32 s0, sendmsg(MSG_RTN_GET_DOORBELL)
	s_mov_b32 ttmp2, m0
	s_waitcnt lgkmcnt(0)
	s_and_b32 s0, s0, 0x3ff
	s_delay_alu instid0(SALU_CYCLE_1) | instskip(NEXT) | instid1(SALU_CYCLE_1)
	s_bitset1_b32 s0, 10
	s_mov_b32 m0, s0
	s_sendmsg sendmsg(MSG_INTERRUPT)
	s_mov_b32 m0, ttmp2
.LBB6_1563:                             ; =>This Inner Loop Header: Depth=1
	s_sethalt 5
	s_branch .LBB6_1563
.LBB6_1564:
	s_trap 2
	s_sendmsg_rtn_b32 s0, sendmsg(MSG_RTN_GET_DOORBELL)
	s_mov_b32 ttmp2, m0
	s_waitcnt lgkmcnt(0)
	s_and_b32 s0, s0, 0x3ff
	s_delay_alu instid0(SALU_CYCLE_1) | instskip(NEXT) | instid1(SALU_CYCLE_1)
	s_bitset1_b32 s0, 10
	s_mov_b32 m0, s0
	s_sendmsg sendmsg(MSG_INTERRUPT)
	s_mov_b32 m0, ttmp2
.LBB6_1565:                             ; =>This Inner Loop Header: Depth=1
	s_sethalt 5
	s_branch .LBB6_1565
.LBB6_1566:
	s_trap 2
	s_sendmsg_rtn_b32 s0, sendmsg(MSG_RTN_GET_DOORBELL)
	s_mov_b32 ttmp2, m0
	s_waitcnt lgkmcnt(0)
	s_and_b32 s0, s0, 0x3ff
	s_delay_alu instid0(SALU_CYCLE_1) | instskip(NEXT) | instid1(SALU_CYCLE_1)
	s_bitset1_b32 s0, 10
	s_mov_b32 m0, s0
	s_sendmsg sendmsg(MSG_INTERRUPT)
	s_mov_b32 m0, ttmp2
.LBB6_1567:                             ; =>This Inner Loop Header: Depth=1
	s_sethalt 5
	s_branch .LBB6_1567
.LBB6_1568:
	s_trap 2
	s_sendmsg_rtn_b32 s0, sendmsg(MSG_RTN_GET_DOORBELL)
	s_mov_b32 ttmp2, m0
	s_waitcnt lgkmcnt(0)
	s_and_b32 s0, s0, 0x3ff
	s_delay_alu instid0(SALU_CYCLE_1) | instskip(NEXT) | instid1(SALU_CYCLE_1)
	s_bitset1_b32 s0, 10
	s_mov_b32 m0, s0
	s_sendmsg sendmsg(MSG_INTERRUPT)
	s_mov_b32 m0, ttmp2
.LBB6_1569:                             ; =>This Inner Loop Header: Depth=1
	s_sethalt 5
	s_branch .LBB6_1569
.LBB6_1570:
	s_trap 2
	s_sendmsg_rtn_b32 s0, sendmsg(MSG_RTN_GET_DOORBELL)
	s_mov_b32 ttmp2, m0
	s_waitcnt lgkmcnt(0)
	s_and_b32 s0, s0, 0x3ff
	s_delay_alu instid0(SALU_CYCLE_1) | instskip(NEXT) | instid1(SALU_CYCLE_1)
	s_bitset1_b32 s0, 10
	s_mov_b32 m0, s0
	s_sendmsg sendmsg(MSG_INTERRUPT)
	s_mov_b32 m0, ttmp2
.LBB6_1571:                             ; =>This Inner Loop Header: Depth=1
	s_sethalt 5
	s_branch .LBB6_1571
.LBB6_1572:
	s_trap 2
	s_sendmsg_rtn_b32 s0, sendmsg(MSG_RTN_GET_DOORBELL)
	s_mov_b32 ttmp2, m0
	s_waitcnt lgkmcnt(0)
	s_and_b32 s0, s0, 0x3ff
	s_delay_alu instid0(SALU_CYCLE_1) | instskip(NEXT) | instid1(SALU_CYCLE_1)
	s_bitset1_b32 s0, 10
	s_mov_b32 m0, s0
	s_sendmsg sendmsg(MSG_INTERRUPT)
	s_mov_b32 m0, ttmp2
.LBB6_1573:                             ; =>This Inner Loop Header: Depth=1
	s_sethalt 5
	s_branch .LBB6_1573
.LBB6_1574:
	s_trap 2
	s_sendmsg_rtn_b32 s0, sendmsg(MSG_RTN_GET_DOORBELL)
	s_mov_b32 ttmp2, m0
	s_waitcnt lgkmcnt(0)
	s_and_b32 s0, s0, 0x3ff
	s_delay_alu instid0(SALU_CYCLE_1) | instskip(NEXT) | instid1(SALU_CYCLE_1)
	s_bitset1_b32 s0, 10
	s_mov_b32 m0, s0
	s_sendmsg sendmsg(MSG_INTERRUPT)
	s_mov_b32 m0, ttmp2
.LBB6_1575:                             ; =>This Inner Loop Header: Depth=1
	s_sethalt 5
	s_branch .LBB6_1575
.LBB6_1576:
	s_trap 2
	s_sendmsg_rtn_b32 s0, sendmsg(MSG_RTN_GET_DOORBELL)
	s_mov_b32 ttmp2, m0
	s_waitcnt lgkmcnt(0)
	s_and_b32 s0, s0, 0x3ff
	s_delay_alu instid0(SALU_CYCLE_1) | instskip(NEXT) | instid1(SALU_CYCLE_1)
	s_bitset1_b32 s0, 10
	s_mov_b32 m0, s0
	s_sendmsg sendmsg(MSG_INTERRUPT)
	s_mov_b32 m0, ttmp2
.LBB6_1577:                             ; =>This Inner Loop Header: Depth=1
	s_sethalt 5
	s_branch .LBB6_1577
.LBB6_1578:
	s_trap 2
	s_sendmsg_rtn_b32 s0, sendmsg(MSG_RTN_GET_DOORBELL)
	s_mov_b32 ttmp2, m0
	s_waitcnt lgkmcnt(0)
	s_and_b32 s0, s0, 0x3ff
	s_delay_alu instid0(SALU_CYCLE_1) | instskip(NEXT) | instid1(SALU_CYCLE_1)
	s_bitset1_b32 s0, 10
	s_mov_b32 m0, s0
	s_sendmsg sendmsg(MSG_INTERRUPT)
	s_mov_b32 m0, ttmp2
.LBB6_1579:                             ; =>This Inner Loop Header: Depth=1
	s_sethalt 5
	s_branch .LBB6_1579
.LBB6_1580:
	s_trap 2
	s_sendmsg_rtn_b32 s0, sendmsg(MSG_RTN_GET_DOORBELL)
	s_mov_b32 ttmp2, m0
	s_waitcnt lgkmcnt(0)
	s_and_b32 s0, s0, 0x3ff
	s_delay_alu instid0(SALU_CYCLE_1) | instskip(NEXT) | instid1(SALU_CYCLE_1)
	s_bitset1_b32 s0, 10
	s_mov_b32 m0, s0
	s_sendmsg sendmsg(MSG_INTERRUPT)
	s_mov_b32 m0, ttmp2
.LBB6_1581:                             ; =>This Inner Loop Header: Depth=1
	s_sethalt 5
	s_branch .LBB6_1581
.LBB6_1582:
	s_trap 2
	s_sendmsg_rtn_b32 s0, sendmsg(MSG_RTN_GET_DOORBELL)
	s_mov_b32 ttmp2, m0
	s_waitcnt lgkmcnt(0)
	s_and_b32 s0, s0, 0x3ff
	s_delay_alu instid0(SALU_CYCLE_1) | instskip(NEXT) | instid1(SALU_CYCLE_1)
	s_bitset1_b32 s0, 10
	s_mov_b32 m0, s0
	s_sendmsg sendmsg(MSG_INTERRUPT)
	s_mov_b32 m0, ttmp2
.LBB6_1583:                             ; =>This Inner Loop Header: Depth=1
	s_sethalt 5
	s_branch .LBB6_1583
.LBB6_1584:
	s_trap 2
	s_sendmsg_rtn_b32 s0, sendmsg(MSG_RTN_GET_DOORBELL)
	s_mov_b32 ttmp2, m0
	s_waitcnt lgkmcnt(0)
	s_and_b32 s0, s0, 0x3ff
	s_delay_alu instid0(SALU_CYCLE_1) | instskip(NEXT) | instid1(SALU_CYCLE_1)
	s_bitset1_b32 s0, 10
	s_mov_b32 m0, s0
	s_sendmsg sendmsg(MSG_INTERRUPT)
	s_mov_b32 m0, ttmp2
.LBB6_1585:                             ; =>This Inner Loop Header: Depth=1
	s_sethalt 5
	s_branch .LBB6_1585
.LBB6_1586:
	s_trap 2
	s_sendmsg_rtn_b32 s0, sendmsg(MSG_RTN_GET_DOORBELL)
	s_mov_b32 ttmp2, m0
	s_waitcnt lgkmcnt(0)
	s_and_b32 s0, s0, 0x3ff
	s_delay_alu instid0(SALU_CYCLE_1) | instskip(NEXT) | instid1(SALU_CYCLE_1)
	s_bitset1_b32 s0, 10
	s_mov_b32 m0, s0
	s_sendmsg sendmsg(MSG_INTERRUPT)
	s_mov_b32 m0, ttmp2
.LBB6_1587:                             ; =>This Inner Loop Header: Depth=1
	s_sethalt 5
	s_branch .LBB6_1587
.LBB6_1588:
	s_trap 2
	s_sendmsg_rtn_b32 s0, sendmsg(MSG_RTN_GET_DOORBELL)
	s_mov_b32 ttmp2, m0
	s_waitcnt lgkmcnt(0)
	s_and_b32 s0, s0, 0x3ff
	s_delay_alu instid0(SALU_CYCLE_1) | instskip(NEXT) | instid1(SALU_CYCLE_1)
	s_bitset1_b32 s0, 10
	s_mov_b32 m0, s0
	s_sendmsg sendmsg(MSG_INTERRUPT)
	s_mov_b32 m0, ttmp2
.LBB6_1589:                             ; =>This Inner Loop Header: Depth=1
	s_sethalt 5
	s_branch .LBB6_1589
.LBB6_1590:
	s_trap 2
	s_sendmsg_rtn_b32 s0, sendmsg(MSG_RTN_GET_DOORBELL)
	s_mov_b32 ttmp2, m0
	s_waitcnt lgkmcnt(0)
	s_and_b32 s0, s0, 0x3ff
	s_delay_alu instid0(SALU_CYCLE_1) | instskip(NEXT) | instid1(SALU_CYCLE_1)
	s_bitset1_b32 s0, 10
	s_mov_b32 m0, s0
	s_sendmsg sendmsg(MSG_INTERRUPT)
	s_mov_b32 m0, ttmp2
.LBB6_1591:                             ; =>This Inner Loop Header: Depth=1
	s_sethalt 5
	s_branch .LBB6_1591
.LBB6_1592:
	s_trap 2
	s_sendmsg_rtn_b32 s0, sendmsg(MSG_RTN_GET_DOORBELL)
	s_mov_b32 ttmp2, m0
	s_waitcnt lgkmcnt(0)
	s_and_b32 s0, s0, 0x3ff
	s_delay_alu instid0(SALU_CYCLE_1) | instskip(NEXT) | instid1(SALU_CYCLE_1)
	s_bitset1_b32 s0, 10
	s_mov_b32 m0, s0
	s_sendmsg sendmsg(MSG_INTERRUPT)
	s_mov_b32 m0, ttmp2
.LBB6_1593:                             ; =>This Inner Loop Header: Depth=1
	s_sethalt 5
	s_branch .LBB6_1593
.LBB6_1594:
	s_trap 2
	s_sendmsg_rtn_b32 s0, sendmsg(MSG_RTN_GET_DOORBELL)
	s_mov_b32 ttmp2, m0
	s_waitcnt lgkmcnt(0)
	s_and_b32 s0, s0, 0x3ff
	s_delay_alu instid0(SALU_CYCLE_1) | instskip(NEXT) | instid1(SALU_CYCLE_1)
	s_bitset1_b32 s0, 10
	s_mov_b32 m0, s0
	s_sendmsg sendmsg(MSG_INTERRUPT)
	s_mov_b32 m0, ttmp2
.LBB6_1595:                             ; =>This Inner Loop Header: Depth=1
	s_sethalt 5
	s_branch .LBB6_1595
.LBB6_1596:
	s_trap 2
	s_sendmsg_rtn_b32 s0, sendmsg(MSG_RTN_GET_DOORBELL)
	s_mov_b32 ttmp2, m0
	s_waitcnt lgkmcnt(0)
	s_and_b32 s0, s0, 0x3ff
	s_delay_alu instid0(SALU_CYCLE_1) | instskip(NEXT) | instid1(SALU_CYCLE_1)
	s_bitset1_b32 s0, 10
	s_mov_b32 m0, s0
	s_sendmsg sendmsg(MSG_INTERRUPT)
	s_mov_b32 m0, ttmp2
.LBB6_1597:                             ; =>This Inner Loop Header: Depth=1
	s_sethalt 5
	s_branch .LBB6_1597
.LBB6_1598:
	s_trap 2
	s_sendmsg_rtn_b32 s0, sendmsg(MSG_RTN_GET_DOORBELL)
	s_mov_b32 ttmp2, m0
	s_waitcnt lgkmcnt(0)
	s_and_b32 s0, s0, 0x3ff
	s_delay_alu instid0(SALU_CYCLE_1) | instskip(NEXT) | instid1(SALU_CYCLE_1)
	s_bitset1_b32 s0, 10
	s_mov_b32 m0, s0
	s_sendmsg sendmsg(MSG_INTERRUPT)
	s_mov_b32 m0, ttmp2
.LBB6_1599:                             ; =>This Inner Loop Header: Depth=1
	s_sethalt 5
	s_branch .LBB6_1599
.LBB6_1600:
	s_trap 2
	s_sendmsg_rtn_b32 s0, sendmsg(MSG_RTN_GET_DOORBELL)
	s_mov_b32 ttmp2, m0
	s_waitcnt lgkmcnt(0)
	s_and_b32 s0, s0, 0x3ff
	s_delay_alu instid0(SALU_CYCLE_1) | instskip(NEXT) | instid1(SALU_CYCLE_1)
	s_bitset1_b32 s0, 10
	s_mov_b32 m0, s0
	s_sendmsg sendmsg(MSG_INTERRUPT)
	s_mov_b32 m0, ttmp2
.LBB6_1601:                             ; =>This Inner Loop Header: Depth=1
	s_sethalt 5
	s_branch .LBB6_1601
.LBB6_1602:
	s_trap 2
	s_sendmsg_rtn_b32 s0, sendmsg(MSG_RTN_GET_DOORBELL)
	s_mov_b32 ttmp2, m0
	s_waitcnt lgkmcnt(0)
	s_and_b32 s0, s0, 0x3ff
	s_delay_alu instid0(SALU_CYCLE_1) | instskip(NEXT) | instid1(SALU_CYCLE_1)
	s_bitset1_b32 s0, 10
	s_mov_b32 m0, s0
	s_sendmsg sendmsg(MSG_INTERRUPT)
	s_mov_b32 m0, ttmp2
.LBB6_1603:                             ; =>This Inner Loop Header: Depth=1
	s_sethalt 5
	s_branch .LBB6_1603
.LBB6_1604:
	s_trap 2
	s_sendmsg_rtn_b32 s0, sendmsg(MSG_RTN_GET_DOORBELL)
	s_mov_b32 ttmp2, m0
	s_waitcnt lgkmcnt(0)
	s_and_b32 s0, s0, 0x3ff
	s_delay_alu instid0(SALU_CYCLE_1) | instskip(NEXT) | instid1(SALU_CYCLE_1)
	s_bitset1_b32 s0, 10
	s_mov_b32 m0, s0
	s_sendmsg sendmsg(MSG_INTERRUPT)
	s_mov_b32 m0, ttmp2
.LBB6_1605:                             ; =>This Inner Loop Header: Depth=1
	s_sethalt 5
	s_branch .LBB6_1605
.LBB6_1606:
	s_trap 2
	s_sendmsg_rtn_b32 s0, sendmsg(MSG_RTN_GET_DOORBELL)
	s_mov_b32 ttmp2, m0
	s_waitcnt lgkmcnt(0)
	s_and_b32 s0, s0, 0x3ff
	s_delay_alu instid0(SALU_CYCLE_1) | instskip(NEXT) | instid1(SALU_CYCLE_1)
	s_bitset1_b32 s0, 10
	s_mov_b32 m0, s0
	s_sendmsg sendmsg(MSG_INTERRUPT)
	s_mov_b32 m0, ttmp2
.LBB6_1607:                             ; =>This Inner Loop Header: Depth=1
	s_sethalt 5
	s_branch .LBB6_1607
.LBB6_1608:
	s_trap 2
	s_sendmsg_rtn_b32 s0, sendmsg(MSG_RTN_GET_DOORBELL)
	s_mov_b32 ttmp2, m0
	s_waitcnt lgkmcnt(0)
	s_and_b32 s0, s0, 0x3ff
	s_delay_alu instid0(SALU_CYCLE_1) | instskip(NEXT) | instid1(SALU_CYCLE_1)
	s_bitset1_b32 s0, 10
	s_mov_b32 m0, s0
	s_sendmsg sendmsg(MSG_INTERRUPT)
	s_mov_b32 m0, ttmp2
.LBB6_1609:                             ; =>This Inner Loop Header: Depth=1
	s_sethalt 5
	s_branch .LBB6_1609
.LBB6_1610:
	s_trap 2
	s_sendmsg_rtn_b32 s0, sendmsg(MSG_RTN_GET_DOORBELL)
	s_mov_b32 ttmp2, m0
	s_waitcnt lgkmcnt(0)
	s_and_b32 s0, s0, 0x3ff
	s_delay_alu instid0(SALU_CYCLE_1) | instskip(NEXT) | instid1(SALU_CYCLE_1)
	s_bitset1_b32 s0, 10
	s_mov_b32 m0, s0
	s_sendmsg sendmsg(MSG_INTERRUPT)
	s_mov_b32 m0, ttmp2
.LBB6_1611:                             ; =>This Inner Loop Header: Depth=1
	s_sethalt 5
	s_branch .LBB6_1611
.LBB6_1612:
	s_trap 2
	s_sendmsg_rtn_b32 s0, sendmsg(MSG_RTN_GET_DOORBELL)
	s_mov_b32 ttmp2, m0
	s_waitcnt lgkmcnt(0)
	s_and_b32 s0, s0, 0x3ff
	s_delay_alu instid0(SALU_CYCLE_1) | instskip(NEXT) | instid1(SALU_CYCLE_1)
	s_bitset1_b32 s0, 10
	s_mov_b32 m0, s0
	s_sendmsg sendmsg(MSG_INTERRUPT)
	s_mov_b32 m0, ttmp2
.LBB6_1613:                             ; =>This Inner Loop Header: Depth=1
	s_sethalt 5
	s_branch .LBB6_1613
.LBB6_1614:
	s_trap 2
	s_sendmsg_rtn_b32 s0, sendmsg(MSG_RTN_GET_DOORBELL)
	s_mov_b32 ttmp2, m0
	s_waitcnt lgkmcnt(0)
	s_and_b32 s0, s0, 0x3ff
	s_delay_alu instid0(SALU_CYCLE_1) | instskip(NEXT) | instid1(SALU_CYCLE_1)
	s_bitset1_b32 s0, 10
	s_mov_b32 m0, s0
	s_sendmsg sendmsg(MSG_INTERRUPT)
	s_mov_b32 m0, ttmp2
.LBB6_1615:                             ; =>This Inner Loop Header: Depth=1
	s_sethalt 5
	s_branch .LBB6_1615
.LBB6_1616:
	s_trap 2
	s_sendmsg_rtn_b32 s0, sendmsg(MSG_RTN_GET_DOORBELL)
	s_mov_b32 ttmp2, m0
	s_waitcnt lgkmcnt(0)
	s_and_b32 s0, s0, 0x3ff
	s_delay_alu instid0(SALU_CYCLE_1) | instskip(NEXT) | instid1(SALU_CYCLE_1)
	s_bitset1_b32 s0, 10
	s_mov_b32 m0, s0
	s_sendmsg sendmsg(MSG_INTERRUPT)
	s_mov_b32 m0, ttmp2
.LBB6_1617:                             ; =>This Inner Loop Header: Depth=1
	s_sethalt 5
	s_branch .LBB6_1617
.LBB6_1618:
	s_trap 2
	s_sendmsg_rtn_b32 s0, sendmsg(MSG_RTN_GET_DOORBELL)
	s_mov_b32 ttmp2, m0
	s_waitcnt lgkmcnt(0)
	s_and_b32 s0, s0, 0x3ff
	s_delay_alu instid0(SALU_CYCLE_1) | instskip(NEXT) | instid1(SALU_CYCLE_1)
	s_bitset1_b32 s0, 10
	s_mov_b32 m0, s0
	s_sendmsg sendmsg(MSG_INTERRUPT)
	s_mov_b32 m0, ttmp2
.LBB6_1619:                             ; =>This Inner Loop Header: Depth=1
	s_sethalt 5
	s_branch .LBB6_1619
.LBB6_1620:
	s_trap 2
	s_sendmsg_rtn_b32 s0, sendmsg(MSG_RTN_GET_DOORBELL)
	s_mov_b32 ttmp2, m0
	s_waitcnt lgkmcnt(0)
	s_and_b32 s0, s0, 0x3ff
	s_delay_alu instid0(SALU_CYCLE_1) | instskip(NEXT) | instid1(SALU_CYCLE_1)
	s_bitset1_b32 s0, 10
	s_mov_b32 m0, s0
	s_sendmsg sendmsg(MSG_INTERRUPT)
	s_mov_b32 m0, ttmp2
.LBB6_1621:                             ; =>This Inner Loop Header: Depth=1
	s_sethalt 5
	s_branch .LBB6_1621
.LBB6_1622:
	s_trap 2
	s_sendmsg_rtn_b32 s0, sendmsg(MSG_RTN_GET_DOORBELL)
	s_mov_b32 ttmp2, m0
	s_waitcnt lgkmcnt(0)
	s_and_b32 s0, s0, 0x3ff
	s_delay_alu instid0(SALU_CYCLE_1) | instskip(NEXT) | instid1(SALU_CYCLE_1)
	s_bitset1_b32 s0, 10
	s_mov_b32 m0, s0
	s_sendmsg sendmsg(MSG_INTERRUPT)
	s_mov_b32 m0, ttmp2
.LBB6_1623:                             ; =>This Inner Loop Header: Depth=1
	s_sethalt 5
	s_branch .LBB6_1623
.LBB6_1624:
	s_trap 2
	s_sendmsg_rtn_b32 s0, sendmsg(MSG_RTN_GET_DOORBELL)
	s_mov_b32 ttmp2, m0
	s_waitcnt lgkmcnt(0)
	s_and_b32 s0, s0, 0x3ff
	s_delay_alu instid0(SALU_CYCLE_1) | instskip(NEXT) | instid1(SALU_CYCLE_1)
	s_bitset1_b32 s0, 10
	s_mov_b32 m0, s0
	s_sendmsg sendmsg(MSG_INTERRUPT)
	s_mov_b32 m0, ttmp2
.LBB6_1625:                             ; =>This Inner Loop Header: Depth=1
	s_sethalt 5
	s_branch .LBB6_1625
.LBB6_1626:
	s_trap 2
	s_sendmsg_rtn_b32 s0, sendmsg(MSG_RTN_GET_DOORBELL)
	s_mov_b32 ttmp2, m0
	s_waitcnt lgkmcnt(0)
	s_and_b32 s0, s0, 0x3ff
	s_delay_alu instid0(SALU_CYCLE_1) | instskip(NEXT) | instid1(SALU_CYCLE_1)
	s_bitset1_b32 s0, 10
	s_mov_b32 m0, s0
	s_sendmsg sendmsg(MSG_INTERRUPT)
	s_mov_b32 m0, ttmp2
.LBB6_1627:                             ; =>This Inner Loop Header: Depth=1
	s_sethalt 5
	s_branch .LBB6_1627
.LBB6_1628:
	s_trap 2
	s_sendmsg_rtn_b32 s0, sendmsg(MSG_RTN_GET_DOORBELL)
	s_mov_b32 ttmp2, m0
	s_waitcnt lgkmcnt(0)
	s_and_b32 s0, s0, 0x3ff
	s_delay_alu instid0(SALU_CYCLE_1) | instskip(NEXT) | instid1(SALU_CYCLE_1)
	s_bitset1_b32 s0, 10
	s_mov_b32 m0, s0
	s_sendmsg sendmsg(MSG_INTERRUPT)
	s_mov_b32 m0, ttmp2
.LBB6_1629:                             ; =>This Inner Loop Header: Depth=1
	s_sethalt 5
	s_branch .LBB6_1629
.LBB6_1630:
	s_trap 2
	s_sendmsg_rtn_b32 s0, sendmsg(MSG_RTN_GET_DOORBELL)
	s_mov_b32 ttmp2, m0
	s_waitcnt lgkmcnt(0)
	s_and_b32 s0, s0, 0x3ff
	s_delay_alu instid0(SALU_CYCLE_1) | instskip(NEXT) | instid1(SALU_CYCLE_1)
	s_bitset1_b32 s0, 10
	s_mov_b32 m0, s0
	s_sendmsg sendmsg(MSG_INTERRUPT)
	s_mov_b32 m0, ttmp2
.LBB6_1631:                             ; =>This Inner Loop Header: Depth=1
	s_sethalt 5
	s_branch .LBB6_1631
.LBB6_1632:
	s_trap 2
	s_sendmsg_rtn_b32 s0, sendmsg(MSG_RTN_GET_DOORBELL)
	s_mov_b32 ttmp2, m0
	s_waitcnt lgkmcnt(0)
	s_and_b32 s0, s0, 0x3ff
	s_delay_alu instid0(SALU_CYCLE_1) | instskip(NEXT) | instid1(SALU_CYCLE_1)
	s_bitset1_b32 s0, 10
	s_mov_b32 m0, s0
	s_sendmsg sendmsg(MSG_INTERRUPT)
	s_mov_b32 m0, ttmp2
.LBB6_1633:                             ; =>This Inner Loop Header: Depth=1
	s_sethalt 5
	s_branch .LBB6_1633
.LBB6_1634:
	s_trap 2
	s_sendmsg_rtn_b32 s0, sendmsg(MSG_RTN_GET_DOORBELL)
	s_mov_b32 ttmp2, m0
	s_waitcnt lgkmcnt(0)
	s_and_b32 s0, s0, 0x3ff
	s_delay_alu instid0(SALU_CYCLE_1) | instskip(NEXT) | instid1(SALU_CYCLE_1)
	s_bitset1_b32 s0, 10
	s_mov_b32 m0, s0
	s_sendmsg sendmsg(MSG_INTERRUPT)
	s_mov_b32 m0, ttmp2
.LBB6_1635:                             ; =>This Inner Loop Header: Depth=1
	s_sethalt 5
	s_branch .LBB6_1635
.LBB6_1636:
	s_trap 2
	s_sendmsg_rtn_b32 s0, sendmsg(MSG_RTN_GET_DOORBELL)
	s_mov_b32 ttmp2, m0
	s_waitcnt lgkmcnt(0)
	s_and_b32 s0, s0, 0x3ff
	s_delay_alu instid0(SALU_CYCLE_1) | instskip(NEXT) | instid1(SALU_CYCLE_1)
	s_bitset1_b32 s0, 10
	s_mov_b32 m0, s0
	s_sendmsg sendmsg(MSG_INTERRUPT)
	s_mov_b32 m0, ttmp2
.LBB6_1637:                             ; =>This Inner Loop Header: Depth=1
	s_sethalt 5
	s_branch .LBB6_1637
.LBB6_1638:
	s_trap 2
	s_sendmsg_rtn_b32 s0, sendmsg(MSG_RTN_GET_DOORBELL)
	s_mov_b32 ttmp2, m0
	s_waitcnt lgkmcnt(0)
	s_and_b32 s0, s0, 0x3ff
	s_delay_alu instid0(SALU_CYCLE_1) | instskip(NEXT) | instid1(SALU_CYCLE_1)
	s_bitset1_b32 s0, 10
	s_mov_b32 m0, s0
	s_sendmsg sendmsg(MSG_INTERRUPT)
	s_mov_b32 m0, ttmp2
.LBB6_1639:                             ; =>This Inner Loop Header: Depth=1
	s_sethalt 5
	s_branch .LBB6_1639
.LBB6_1640:
	s_trap 2
	s_sendmsg_rtn_b32 s0, sendmsg(MSG_RTN_GET_DOORBELL)
	s_mov_b32 ttmp2, m0
	s_waitcnt lgkmcnt(0)
	s_and_b32 s0, s0, 0x3ff
	s_delay_alu instid0(SALU_CYCLE_1) | instskip(NEXT) | instid1(SALU_CYCLE_1)
	s_bitset1_b32 s0, 10
	s_mov_b32 m0, s0
	s_sendmsg sendmsg(MSG_INTERRUPT)
	s_mov_b32 m0, ttmp2
.LBB6_1641:                             ; =>This Inner Loop Header: Depth=1
	s_sethalt 5
	s_branch .LBB6_1641
.LBB6_1642:
	s_trap 2
	s_sendmsg_rtn_b32 s0, sendmsg(MSG_RTN_GET_DOORBELL)
	s_mov_b32 ttmp2, m0
	s_waitcnt lgkmcnt(0)
	s_and_b32 s0, s0, 0x3ff
	s_delay_alu instid0(SALU_CYCLE_1) | instskip(NEXT) | instid1(SALU_CYCLE_1)
	s_bitset1_b32 s0, 10
	s_mov_b32 m0, s0
	s_sendmsg sendmsg(MSG_INTERRUPT)
	s_mov_b32 m0, ttmp2
.LBB6_1643:                             ; =>This Inner Loop Header: Depth=1
	s_sethalt 5
	s_branch .LBB6_1643
.LBB6_1644:
	s_trap 2
	s_sendmsg_rtn_b32 s0, sendmsg(MSG_RTN_GET_DOORBELL)
	s_mov_b32 ttmp2, m0
	s_waitcnt lgkmcnt(0)
	s_and_b32 s0, s0, 0x3ff
	s_delay_alu instid0(SALU_CYCLE_1) | instskip(NEXT) | instid1(SALU_CYCLE_1)
	s_bitset1_b32 s0, 10
	s_mov_b32 m0, s0
	s_sendmsg sendmsg(MSG_INTERRUPT)
	s_mov_b32 m0, ttmp2
.LBB6_1645:                             ; =>This Inner Loop Header: Depth=1
	s_sethalt 5
	s_branch .LBB6_1645
.LBB6_1646:
	s_trap 2
	s_sendmsg_rtn_b32 s0, sendmsg(MSG_RTN_GET_DOORBELL)
	s_mov_b32 ttmp2, m0
	s_waitcnt lgkmcnt(0)
	s_and_b32 s0, s0, 0x3ff
	s_delay_alu instid0(SALU_CYCLE_1) | instskip(NEXT) | instid1(SALU_CYCLE_1)
	s_bitset1_b32 s0, 10
	s_mov_b32 m0, s0
	s_sendmsg sendmsg(MSG_INTERRUPT)
	s_mov_b32 m0, ttmp2
.LBB6_1647:                             ; =>This Inner Loop Header: Depth=1
	s_sethalt 5
	s_branch .LBB6_1647
.LBB6_1648:
	s_trap 2
	s_sendmsg_rtn_b32 s0, sendmsg(MSG_RTN_GET_DOORBELL)
	s_mov_b32 ttmp2, m0
	s_waitcnt lgkmcnt(0)
	s_and_b32 s0, s0, 0x3ff
	s_delay_alu instid0(SALU_CYCLE_1) | instskip(NEXT) | instid1(SALU_CYCLE_1)
	s_bitset1_b32 s0, 10
	s_mov_b32 m0, s0
	s_sendmsg sendmsg(MSG_INTERRUPT)
	s_mov_b32 m0, ttmp2
.LBB6_1649:                             ; =>This Inner Loop Header: Depth=1
	s_sethalt 5
	s_branch .LBB6_1649
.LBB6_1650:
	s_trap 2
	s_sendmsg_rtn_b32 s0, sendmsg(MSG_RTN_GET_DOORBELL)
	s_mov_b32 ttmp2, m0
	s_waitcnt lgkmcnt(0)
	s_and_b32 s0, s0, 0x3ff
	s_delay_alu instid0(SALU_CYCLE_1) | instskip(NEXT) | instid1(SALU_CYCLE_1)
	s_bitset1_b32 s0, 10
	s_mov_b32 m0, s0
	s_sendmsg sendmsg(MSG_INTERRUPT)
	s_mov_b32 m0, ttmp2
.LBB6_1651:                             ; =>This Inner Loop Header: Depth=1
	s_sethalt 5
	s_branch .LBB6_1651
.LBB6_1652:
	s_trap 2
	s_sendmsg_rtn_b32 s0, sendmsg(MSG_RTN_GET_DOORBELL)
	s_mov_b32 ttmp2, m0
	s_waitcnt lgkmcnt(0)
	s_and_b32 s0, s0, 0x3ff
	s_delay_alu instid0(SALU_CYCLE_1) | instskip(NEXT) | instid1(SALU_CYCLE_1)
	s_bitset1_b32 s0, 10
	s_mov_b32 m0, s0
	s_sendmsg sendmsg(MSG_INTERRUPT)
	s_mov_b32 m0, ttmp2
.LBB6_1653:                             ; =>This Inner Loop Header: Depth=1
	s_sethalt 5
	s_branch .LBB6_1653
.LBB6_1654:
	s_trap 2
	s_sendmsg_rtn_b32 s0, sendmsg(MSG_RTN_GET_DOORBELL)
	s_mov_b32 ttmp2, m0
	s_waitcnt lgkmcnt(0)
	s_and_b32 s0, s0, 0x3ff
	s_delay_alu instid0(SALU_CYCLE_1) | instskip(NEXT) | instid1(SALU_CYCLE_1)
	s_bitset1_b32 s0, 10
	s_mov_b32 m0, s0
	s_sendmsg sendmsg(MSG_INTERRUPT)
	s_mov_b32 m0, ttmp2
.LBB6_1655:                             ; =>This Inner Loop Header: Depth=1
	s_sethalt 5
	s_branch .LBB6_1655
.LBB6_1656:
	s_trap 2
	s_sendmsg_rtn_b32 s0, sendmsg(MSG_RTN_GET_DOORBELL)
	s_mov_b32 ttmp2, m0
	s_waitcnt lgkmcnt(0)
	s_and_b32 s0, s0, 0x3ff
	s_delay_alu instid0(SALU_CYCLE_1) | instskip(NEXT) | instid1(SALU_CYCLE_1)
	s_bitset1_b32 s0, 10
	s_mov_b32 m0, s0
	s_sendmsg sendmsg(MSG_INTERRUPT)
	s_mov_b32 m0, ttmp2
.LBB6_1657:                             ; =>This Inner Loop Header: Depth=1
	s_sethalt 5
	s_branch .LBB6_1657
.LBB6_1658:
	s_or_b32 exec_lo, exec_lo, s4
	s_and_saveexec_b32 s4, s5
	s_delay_alu instid0(SALU_CYCLE_1)
	s_xor_b32 s4, exec_lo, s4
	s_cbranch_execz .LBB6_1660
; %bb.1659:
	v_mov_b32_e32 v0, 1
	ds_store_b32 v0, v0
	s_cbranch_execnz .LBB6_1748
.LBB6_1660:
	s_or_b32 exec_lo, exec_lo, s3
	;;#ASMSTART
	s_wakeup
	;;#ASMEND
.LBB6_1661:
	s_or_b32 exec_lo, exec_lo, s2
.LBB6_1662:
	s_and_not1_saveexec_b32 s1, s1
	s_cbranch_execz .LBB6_1664
; %bb.1663:
	s_waitcnt lgkmcnt(0)
	s_waitcnt_vscnt null, 0x0
	buffer_gl1_inv
	buffer_gl0_inv
	s_barrier
.LBB6_1664:
	s_or_b32 exec_lo, exec_lo, s0
.LBB6_1665:
	s_and_not1_saveexec_b32 s21, s18
	s_cbranch_execz .LBB6_1667
; %bb.1666:
	s_getpc_b64 s[0:1]
	s_add_u32 s0, s0, __PRETTY_FUNCTION__._ZN10PrimitivesId10FuncMinMaxIdE12FanSymmetricILi1EELi0E11ProtoSimpleILi2ELi2ELi0ELi4ELi0ELi0EELi0ELb0ELi0ELi0ELi0EEC2EiiPKiS8_PKvPvmhhhP15ncclDevWorkCollP14ncclDevWorkP2pii@rel32@lo+4
	s_addc_u32 s1, s1, __PRETTY_FUNCTION__._ZN10PrimitivesId10FuncMinMaxIdE12FanSymmetricILi1EELi0E11ProtoSimpleILi2ELi2ELi0ELi4ELi0ELi0EELi0ELb0ELi0ELi0ELi0EEC2EiiPKiS8_PKvPvmhhhP15ncclDevWorkCollP14ncclDevWorkP2pii@rel32@hi+12
	s_delay_alu instid0(SALU_CYCLE_1) | instskip(SKIP_3) | instid1(SALU_CYCLE_1)
	v_dual_mov_b32 v0, s0 :: v_dual_mov_b32 v1, s1
	s_getpc_b64 s[2:3]
	s_add_u32 s2, s2, __assert_fail@rel32@lo+4
	s_addc_u32 s3, s3, __assert_fail@rel32@hi+12
	s_swappc_b64 s[30:31], s[2:3]
	; divergent unreachable
.LBB6_1667:
	s_or_b32 exec_lo, exec_lo, s21
	s_clause 0x5
	scratch_load_b32 v45, off, s33
	scratch_load_b32 v44, off, s33 offset:4
	scratch_load_b32 v43, off, s33 offset:8
	;; [unrolled: 1-line block ×5, first 2 shown]
	v_readlane_b32 s30, v46, 9
	v_readlane_b32 s31, v46, 10
	;; [unrolled: 1-line block ×12, first 2 shown]
	s_or_saveexec_b32 s1, -1
	s_clause 0x1
	scratch_load_b32 v46, off, s33 offset:24
	scratch_load_b32 v47, off, s33 offset:28
	s_mov_b32 exec_lo, s1
	s_addk_i32 s32, 0xffd0
	s_mov_b32 s33, s0
	s_waitcnt vmcnt(0) lgkmcnt(0)
	s_setpc_b64 s[30:31]
.LBB6_1668:
	s_trap 2
	s_sendmsg_rtn_b32 s0, sendmsg(MSG_RTN_GET_DOORBELL)
	s_mov_b32 ttmp2, m0
	s_waitcnt lgkmcnt(0)
	s_and_b32 s0, s0, 0x3ff
	s_delay_alu instid0(SALU_CYCLE_1) | instskip(NEXT) | instid1(SALU_CYCLE_1)
	s_bitset1_b32 s0, 10
	s_mov_b32 m0, s0
	s_sendmsg sendmsg(MSG_INTERRUPT)
	s_mov_b32 m0, ttmp2
.LBB6_1669:                             ; =>This Inner Loop Header: Depth=1
	s_sethalt 5
	s_branch .LBB6_1669
.LBB6_1670:
	s_trap 2
	s_sendmsg_rtn_b32 s0, sendmsg(MSG_RTN_GET_DOORBELL)
	s_mov_b32 ttmp2, m0
	s_waitcnt lgkmcnt(0)
	s_and_b32 s0, s0, 0x3ff
	s_delay_alu instid0(SALU_CYCLE_1) | instskip(NEXT) | instid1(SALU_CYCLE_1)
	s_bitset1_b32 s0, 10
	s_mov_b32 m0, s0
	s_sendmsg sendmsg(MSG_INTERRUPT)
	s_mov_b32 m0, ttmp2
.LBB6_1671:                             ; =>This Inner Loop Header: Depth=1
	s_sethalt 5
	s_branch .LBB6_1671
.LBB6_1672:
	s_trap 2
	s_sendmsg_rtn_b32 s0, sendmsg(MSG_RTN_GET_DOORBELL)
	s_mov_b32 ttmp2, m0
	s_waitcnt lgkmcnt(0)
	s_and_b32 s0, s0, 0x3ff
	s_delay_alu instid0(SALU_CYCLE_1) | instskip(NEXT) | instid1(SALU_CYCLE_1)
	s_bitset1_b32 s0, 10
	s_mov_b32 m0, s0
	s_sendmsg sendmsg(MSG_INTERRUPT)
	s_mov_b32 m0, ttmp2
.LBB6_1673:                             ; =>This Inner Loop Header: Depth=1
	s_sethalt 5
	s_branch .LBB6_1673
.LBB6_1674:
	s_trap 2
	s_sendmsg_rtn_b32 s0, sendmsg(MSG_RTN_GET_DOORBELL)
	s_mov_b32 ttmp2, m0
	s_waitcnt lgkmcnt(0)
	s_and_b32 s0, s0, 0x3ff
	s_delay_alu instid0(SALU_CYCLE_1) | instskip(NEXT) | instid1(SALU_CYCLE_1)
	s_bitset1_b32 s0, 10
	s_mov_b32 m0, s0
	s_sendmsg sendmsg(MSG_INTERRUPT)
	s_mov_b32 m0, ttmp2
.LBB6_1675:                             ; =>This Inner Loop Header: Depth=1
	s_sethalt 5
	s_branch .LBB6_1675
.LBB6_1676:
	s_trap 2
	s_sendmsg_rtn_b32 s0, sendmsg(MSG_RTN_GET_DOORBELL)
	s_mov_b32 ttmp2, m0
	s_waitcnt lgkmcnt(0)
	s_and_b32 s0, s0, 0x3ff
	s_delay_alu instid0(SALU_CYCLE_1) | instskip(NEXT) | instid1(SALU_CYCLE_1)
	s_bitset1_b32 s0, 10
	s_mov_b32 m0, s0
	s_sendmsg sendmsg(MSG_INTERRUPT)
	s_mov_b32 m0, ttmp2
.LBB6_1677:                             ; =>This Inner Loop Header: Depth=1
	s_sethalt 5
	s_branch .LBB6_1677
.LBB6_1678:
	s_trap 2
	s_sendmsg_rtn_b32 s0, sendmsg(MSG_RTN_GET_DOORBELL)
	s_mov_b32 ttmp2, m0
	s_waitcnt lgkmcnt(0)
	s_and_b32 s0, s0, 0x3ff
	s_delay_alu instid0(SALU_CYCLE_1) | instskip(NEXT) | instid1(SALU_CYCLE_1)
	s_bitset1_b32 s0, 10
	s_mov_b32 m0, s0
	s_sendmsg sendmsg(MSG_INTERRUPT)
	s_mov_b32 m0, ttmp2
.LBB6_1679:                             ; =>This Inner Loop Header: Depth=1
	s_sethalt 5
	s_branch .LBB6_1679
.LBB6_1680:
	s_trap 2
	s_sendmsg_rtn_b32 s0, sendmsg(MSG_RTN_GET_DOORBELL)
	s_mov_b32 ttmp2, m0
	s_waitcnt lgkmcnt(0)
	s_and_b32 s0, s0, 0x3ff
	s_delay_alu instid0(SALU_CYCLE_1) | instskip(NEXT) | instid1(SALU_CYCLE_1)
	s_bitset1_b32 s0, 10
	s_mov_b32 m0, s0
	s_sendmsg sendmsg(MSG_INTERRUPT)
	s_mov_b32 m0, ttmp2
.LBB6_1681:                             ; =>This Inner Loop Header: Depth=1
	s_sethalt 5
	s_branch .LBB6_1681
.LBB6_1682:
	s_trap 2
	s_sendmsg_rtn_b32 s0, sendmsg(MSG_RTN_GET_DOORBELL)
	s_mov_b32 ttmp2, m0
	s_waitcnt lgkmcnt(0)
	s_and_b32 s0, s0, 0x3ff
	s_delay_alu instid0(SALU_CYCLE_1) | instskip(NEXT) | instid1(SALU_CYCLE_1)
	s_bitset1_b32 s0, 10
	s_mov_b32 m0, s0
	s_sendmsg sendmsg(MSG_INTERRUPT)
	s_mov_b32 m0, ttmp2
.LBB6_1683:                             ; =>This Inner Loop Header: Depth=1
	s_sethalt 5
	s_branch .LBB6_1683
.LBB6_1684:
	s_trap 2
	s_sendmsg_rtn_b32 s0, sendmsg(MSG_RTN_GET_DOORBELL)
	s_mov_b32 ttmp2, m0
	s_waitcnt lgkmcnt(0)
	s_and_b32 s0, s0, 0x3ff
	s_delay_alu instid0(SALU_CYCLE_1) | instskip(NEXT) | instid1(SALU_CYCLE_1)
	s_bitset1_b32 s0, 10
	s_mov_b32 m0, s0
	s_sendmsg sendmsg(MSG_INTERRUPT)
	s_mov_b32 m0, ttmp2
.LBB6_1685:                             ; =>This Inner Loop Header: Depth=1
	s_sethalt 5
	s_branch .LBB6_1685
.LBB6_1686:
	s_trap 2
	s_sendmsg_rtn_b32 s0, sendmsg(MSG_RTN_GET_DOORBELL)
	s_mov_b32 ttmp2, m0
	s_waitcnt lgkmcnt(0)
	s_and_b32 s0, s0, 0x3ff
	s_delay_alu instid0(SALU_CYCLE_1) | instskip(NEXT) | instid1(SALU_CYCLE_1)
	s_bitset1_b32 s0, 10
	s_mov_b32 m0, s0
	s_sendmsg sendmsg(MSG_INTERRUPT)
	s_mov_b32 m0, ttmp2
.LBB6_1687:                             ; =>This Inner Loop Header: Depth=1
	s_sethalt 5
	s_branch .LBB6_1687
.LBB6_1688:
	s_trap 2
	s_sendmsg_rtn_b32 s0, sendmsg(MSG_RTN_GET_DOORBELL)
	s_mov_b32 ttmp2, m0
	s_waitcnt lgkmcnt(0)
	s_and_b32 s0, s0, 0x3ff
	s_delay_alu instid0(SALU_CYCLE_1) | instskip(NEXT) | instid1(SALU_CYCLE_1)
	s_bitset1_b32 s0, 10
	s_mov_b32 m0, s0
	s_sendmsg sendmsg(MSG_INTERRUPT)
	s_mov_b32 m0, ttmp2
.LBB6_1689:                             ; =>This Inner Loop Header: Depth=1
	s_sethalt 5
	s_branch .LBB6_1689
.LBB6_1690:
	s_trap 2
	s_sendmsg_rtn_b32 s0, sendmsg(MSG_RTN_GET_DOORBELL)
	s_mov_b32 ttmp2, m0
	s_waitcnt lgkmcnt(0)
	s_and_b32 s0, s0, 0x3ff
	s_delay_alu instid0(SALU_CYCLE_1) | instskip(NEXT) | instid1(SALU_CYCLE_1)
	s_bitset1_b32 s0, 10
	s_mov_b32 m0, s0
	s_sendmsg sendmsg(MSG_INTERRUPT)
	s_mov_b32 m0, ttmp2
.LBB6_1691:                             ; =>This Inner Loop Header: Depth=1
	s_sethalt 5
	s_branch .LBB6_1691
.LBB6_1692:
	s_trap 2
	s_sendmsg_rtn_b32 s0, sendmsg(MSG_RTN_GET_DOORBELL)
	s_mov_b32 ttmp2, m0
	s_waitcnt lgkmcnt(0)
	s_and_b32 s0, s0, 0x3ff
	s_delay_alu instid0(SALU_CYCLE_1) | instskip(NEXT) | instid1(SALU_CYCLE_1)
	s_bitset1_b32 s0, 10
	s_mov_b32 m0, s0
	s_sendmsg sendmsg(MSG_INTERRUPT)
	s_mov_b32 m0, ttmp2
.LBB6_1693:                             ; =>This Inner Loop Header: Depth=1
	s_sethalt 5
	s_branch .LBB6_1693
.LBB6_1694:
	s_trap 2
	s_sendmsg_rtn_b32 s0, sendmsg(MSG_RTN_GET_DOORBELL)
	s_mov_b32 ttmp2, m0
	s_waitcnt lgkmcnt(0)
	s_and_b32 s0, s0, 0x3ff
	s_delay_alu instid0(SALU_CYCLE_1) | instskip(NEXT) | instid1(SALU_CYCLE_1)
	s_bitset1_b32 s0, 10
	s_mov_b32 m0, s0
	s_sendmsg sendmsg(MSG_INTERRUPT)
	s_mov_b32 m0, ttmp2
.LBB6_1695:                             ; =>This Inner Loop Header: Depth=1
	s_sethalt 5
	s_branch .LBB6_1695
.LBB6_1696:
	s_trap 2
	s_sendmsg_rtn_b32 s0, sendmsg(MSG_RTN_GET_DOORBELL)
	s_mov_b32 ttmp2, m0
	s_waitcnt lgkmcnt(0)
	s_and_b32 s0, s0, 0x3ff
	s_delay_alu instid0(SALU_CYCLE_1) | instskip(NEXT) | instid1(SALU_CYCLE_1)
	s_bitset1_b32 s0, 10
	s_mov_b32 m0, s0
	s_sendmsg sendmsg(MSG_INTERRUPT)
	s_mov_b32 m0, ttmp2
.LBB6_1697:                             ; =>This Inner Loop Header: Depth=1
	s_sethalt 5
	s_branch .LBB6_1697
.LBB6_1698:
	s_trap 2
	s_sendmsg_rtn_b32 s0, sendmsg(MSG_RTN_GET_DOORBELL)
	s_mov_b32 ttmp2, m0
	s_waitcnt lgkmcnt(0)
	s_and_b32 s0, s0, 0x3ff
	s_delay_alu instid0(SALU_CYCLE_1) | instskip(NEXT) | instid1(SALU_CYCLE_1)
	s_bitset1_b32 s0, 10
	s_mov_b32 m0, s0
	s_sendmsg sendmsg(MSG_INTERRUPT)
	s_mov_b32 m0, ttmp2
.LBB6_1699:                             ; =>This Inner Loop Header: Depth=1
	s_sethalt 5
	s_branch .LBB6_1699
.LBB6_1700:
	s_trap 2
	s_sendmsg_rtn_b32 s0, sendmsg(MSG_RTN_GET_DOORBELL)
	s_mov_b32 ttmp2, m0
	s_waitcnt lgkmcnt(0)
	s_and_b32 s0, s0, 0x3ff
	s_delay_alu instid0(SALU_CYCLE_1) | instskip(NEXT) | instid1(SALU_CYCLE_1)
	s_bitset1_b32 s0, 10
	s_mov_b32 m0, s0
	s_sendmsg sendmsg(MSG_INTERRUPT)
	s_mov_b32 m0, ttmp2
.LBB6_1701:                             ; =>This Inner Loop Header: Depth=1
	s_sethalt 5
	s_branch .LBB6_1701
.LBB6_1702:
	s_trap 2
	s_sendmsg_rtn_b32 s0, sendmsg(MSG_RTN_GET_DOORBELL)
	s_mov_b32 ttmp2, m0
	s_waitcnt lgkmcnt(0)
	s_and_b32 s0, s0, 0x3ff
	s_delay_alu instid0(SALU_CYCLE_1) | instskip(NEXT) | instid1(SALU_CYCLE_1)
	s_bitset1_b32 s0, 10
	s_mov_b32 m0, s0
	s_sendmsg sendmsg(MSG_INTERRUPT)
	s_mov_b32 m0, ttmp2
.LBB6_1703:                             ; =>This Inner Loop Header: Depth=1
	s_sethalt 5
	s_branch .LBB6_1703
.LBB6_1704:
	s_trap 2
	s_sendmsg_rtn_b32 s0, sendmsg(MSG_RTN_GET_DOORBELL)
	s_mov_b32 ttmp2, m0
	s_waitcnt lgkmcnt(0)
	s_and_b32 s0, s0, 0x3ff
	s_delay_alu instid0(SALU_CYCLE_1) | instskip(NEXT) | instid1(SALU_CYCLE_1)
	s_bitset1_b32 s0, 10
	s_mov_b32 m0, s0
	s_sendmsg sendmsg(MSG_INTERRUPT)
	s_mov_b32 m0, ttmp2
.LBB6_1705:                             ; =>This Inner Loop Header: Depth=1
	s_sethalt 5
	s_branch .LBB6_1705
.LBB6_1706:
	s_trap 2
	s_sendmsg_rtn_b32 s0, sendmsg(MSG_RTN_GET_DOORBELL)
	s_mov_b32 ttmp2, m0
	s_waitcnt lgkmcnt(0)
	s_and_b32 s0, s0, 0x3ff
	s_delay_alu instid0(SALU_CYCLE_1) | instskip(NEXT) | instid1(SALU_CYCLE_1)
	s_bitset1_b32 s0, 10
	s_mov_b32 m0, s0
	s_sendmsg sendmsg(MSG_INTERRUPT)
	s_mov_b32 m0, ttmp2
.LBB6_1707:                             ; =>This Inner Loop Header: Depth=1
	s_sethalt 5
	s_branch .LBB6_1707
.LBB6_1708:
	s_trap 2
	s_sendmsg_rtn_b32 s0, sendmsg(MSG_RTN_GET_DOORBELL)
	s_mov_b32 ttmp2, m0
	s_waitcnt lgkmcnt(0)
	s_and_b32 s0, s0, 0x3ff
	s_delay_alu instid0(SALU_CYCLE_1) | instskip(NEXT) | instid1(SALU_CYCLE_1)
	s_bitset1_b32 s0, 10
	s_mov_b32 m0, s0
	s_sendmsg sendmsg(MSG_INTERRUPT)
	s_mov_b32 m0, ttmp2
.LBB6_1709:                             ; =>This Inner Loop Header: Depth=1
	s_sethalt 5
	s_branch .LBB6_1709
.LBB6_1710:
	s_trap 2
	s_sendmsg_rtn_b32 s0, sendmsg(MSG_RTN_GET_DOORBELL)
	s_mov_b32 ttmp2, m0
	s_waitcnt lgkmcnt(0)
	s_and_b32 s0, s0, 0x3ff
	s_delay_alu instid0(SALU_CYCLE_1) | instskip(NEXT) | instid1(SALU_CYCLE_1)
	s_bitset1_b32 s0, 10
	s_mov_b32 m0, s0
	s_sendmsg sendmsg(MSG_INTERRUPT)
	s_mov_b32 m0, ttmp2
.LBB6_1711:                             ; =>This Inner Loop Header: Depth=1
	s_sethalt 5
	s_branch .LBB6_1711
.LBB6_1712:
	s_trap 2
	s_sendmsg_rtn_b32 s0, sendmsg(MSG_RTN_GET_DOORBELL)
	s_mov_b32 ttmp2, m0
	s_waitcnt lgkmcnt(0)
	s_and_b32 s0, s0, 0x3ff
	s_delay_alu instid0(SALU_CYCLE_1) | instskip(NEXT) | instid1(SALU_CYCLE_1)
	s_bitset1_b32 s0, 10
	s_mov_b32 m0, s0
	s_sendmsg sendmsg(MSG_INTERRUPT)
	s_mov_b32 m0, ttmp2
.LBB6_1713:                             ; =>This Inner Loop Header: Depth=1
	s_sethalt 5
	s_branch .LBB6_1713
.LBB6_1714:
	s_trap 2
	s_sendmsg_rtn_b32 s0, sendmsg(MSG_RTN_GET_DOORBELL)
	s_mov_b32 ttmp2, m0
	s_waitcnt lgkmcnt(0)
	s_and_b32 s0, s0, 0x3ff
	s_delay_alu instid0(SALU_CYCLE_1) | instskip(NEXT) | instid1(SALU_CYCLE_1)
	s_bitset1_b32 s0, 10
	s_mov_b32 m0, s0
	s_sendmsg sendmsg(MSG_INTERRUPT)
	s_mov_b32 m0, ttmp2
.LBB6_1715:                             ; =>This Inner Loop Header: Depth=1
	s_sethalt 5
	s_branch .LBB6_1715
.LBB6_1716:
	s_trap 2
	s_sendmsg_rtn_b32 s0, sendmsg(MSG_RTN_GET_DOORBELL)
	s_mov_b32 ttmp2, m0
	s_waitcnt lgkmcnt(0)
	s_and_b32 s0, s0, 0x3ff
	s_delay_alu instid0(SALU_CYCLE_1) | instskip(NEXT) | instid1(SALU_CYCLE_1)
	s_bitset1_b32 s0, 10
	s_mov_b32 m0, s0
	s_sendmsg sendmsg(MSG_INTERRUPT)
	s_mov_b32 m0, ttmp2
.LBB6_1717:                             ; =>This Inner Loop Header: Depth=1
	s_sethalt 5
	s_branch .LBB6_1717
.LBB6_1718:
	s_trap 2
	s_sendmsg_rtn_b32 s0, sendmsg(MSG_RTN_GET_DOORBELL)
	s_mov_b32 ttmp2, m0
	s_waitcnt lgkmcnt(0)
	s_and_b32 s0, s0, 0x3ff
	s_delay_alu instid0(SALU_CYCLE_1) | instskip(NEXT) | instid1(SALU_CYCLE_1)
	s_bitset1_b32 s0, 10
	s_mov_b32 m0, s0
	s_sendmsg sendmsg(MSG_INTERRUPT)
	s_mov_b32 m0, ttmp2
.LBB6_1719:                             ; =>This Inner Loop Header: Depth=1
	s_sethalt 5
	s_branch .LBB6_1719
.LBB6_1720:
	s_trap 2
	s_sendmsg_rtn_b32 s0, sendmsg(MSG_RTN_GET_DOORBELL)
	s_mov_b32 ttmp2, m0
	s_waitcnt lgkmcnt(0)
	s_and_b32 s0, s0, 0x3ff
	s_delay_alu instid0(SALU_CYCLE_1) | instskip(NEXT) | instid1(SALU_CYCLE_1)
	s_bitset1_b32 s0, 10
	s_mov_b32 m0, s0
	s_sendmsg sendmsg(MSG_INTERRUPT)
	s_mov_b32 m0, ttmp2
.LBB6_1721:                             ; =>This Inner Loop Header: Depth=1
	s_sethalt 5
	s_branch .LBB6_1721
.LBB6_1722:
	s_trap 2
	s_sendmsg_rtn_b32 s0, sendmsg(MSG_RTN_GET_DOORBELL)
	s_mov_b32 ttmp2, m0
	s_waitcnt lgkmcnt(0)
	s_and_b32 s0, s0, 0x3ff
	s_delay_alu instid0(SALU_CYCLE_1) | instskip(NEXT) | instid1(SALU_CYCLE_1)
	s_bitset1_b32 s0, 10
	s_mov_b32 m0, s0
	s_sendmsg sendmsg(MSG_INTERRUPT)
	s_mov_b32 m0, ttmp2
.LBB6_1723:                             ; =>This Inner Loop Header: Depth=1
	s_sethalt 5
	s_branch .LBB6_1723
.LBB6_1724:
	s_trap 2
	s_sendmsg_rtn_b32 s0, sendmsg(MSG_RTN_GET_DOORBELL)
	s_mov_b32 ttmp2, m0
	s_waitcnt lgkmcnt(0)
	s_and_b32 s0, s0, 0x3ff
	s_delay_alu instid0(SALU_CYCLE_1) | instskip(NEXT) | instid1(SALU_CYCLE_1)
	s_bitset1_b32 s0, 10
	s_mov_b32 m0, s0
	s_sendmsg sendmsg(MSG_INTERRUPT)
	s_mov_b32 m0, ttmp2
.LBB6_1725:                             ; =>This Inner Loop Header: Depth=1
	s_sethalt 5
	s_branch .LBB6_1725
.LBB6_1726:
	s_trap 2
	s_sendmsg_rtn_b32 s0, sendmsg(MSG_RTN_GET_DOORBELL)
	s_mov_b32 ttmp2, m0
	s_waitcnt lgkmcnt(0)
	s_and_b32 s0, s0, 0x3ff
	s_delay_alu instid0(SALU_CYCLE_1) | instskip(NEXT) | instid1(SALU_CYCLE_1)
	s_bitset1_b32 s0, 10
	s_mov_b32 m0, s0
	s_sendmsg sendmsg(MSG_INTERRUPT)
	s_mov_b32 m0, ttmp2
.LBB6_1727:                             ; =>This Inner Loop Header: Depth=1
	s_sethalt 5
	s_branch .LBB6_1727
.LBB6_1728:
	s_trap 2
	s_sendmsg_rtn_b32 s0, sendmsg(MSG_RTN_GET_DOORBELL)
	s_mov_b32 ttmp2, m0
	s_waitcnt lgkmcnt(0)
	s_and_b32 s0, s0, 0x3ff
	s_delay_alu instid0(SALU_CYCLE_1) | instskip(NEXT) | instid1(SALU_CYCLE_1)
	s_bitset1_b32 s0, 10
	s_mov_b32 m0, s0
	s_sendmsg sendmsg(MSG_INTERRUPT)
	s_mov_b32 m0, ttmp2
.LBB6_1729:                             ; =>This Inner Loop Header: Depth=1
	s_sethalt 5
	s_branch .LBB6_1729
.LBB6_1730:
	s_trap 2
	s_sendmsg_rtn_b32 s0, sendmsg(MSG_RTN_GET_DOORBELL)
	s_mov_b32 ttmp2, m0
	s_waitcnt lgkmcnt(0)
	s_and_b32 s0, s0, 0x3ff
	s_delay_alu instid0(SALU_CYCLE_1) | instskip(NEXT) | instid1(SALU_CYCLE_1)
	s_bitset1_b32 s0, 10
	s_mov_b32 m0, s0
	s_sendmsg sendmsg(MSG_INTERRUPT)
	s_mov_b32 m0, ttmp2
.LBB6_1731:                             ; =>This Inner Loop Header: Depth=1
	s_sethalt 5
	s_branch .LBB6_1731
.LBB6_1732:
	s_trap 2
	s_sendmsg_rtn_b32 s0, sendmsg(MSG_RTN_GET_DOORBELL)
	s_mov_b32 ttmp2, m0
	s_waitcnt lgkmcnt(0)
	s_and_b32 s0, s0, 0x3ff
	s_delay_alu instid0(SALU_CYCLE_1) | instskip(NEXT) | instid1(SALU_CYCLE_1)
	s_bitset1_b32 s0, 10
	s_mov_b32 m0, s0
	s_sendmsg sendmsg(MSG_INTERRUPT)
	s_mov_b32 m0, ttmp2
.LBB6_1733:                             ; =>This Inner Loop Header: Depth=1
	s_sethalt 5
	s_branch .LBB6_1733
.LBB6_1734:
	s_trap 2
	s_sendmsg_rtn_b32 s0, sendmsg(MSG_RTN_GET_DOORBELL)
	s_mov_b32 ttmp2, m0
	s_waitcnt lgkmcnt(0)
	s_and_b32 s0, s0, 0x3ff
	s_delay_alu instid0(SALU_CYCLE_1) | instskip(NEXT) | instid1(SALU_CYCLE_1)
	s_bitset1_b32 s0, 10
	s_mov_b32 m0, s0
	s_sendmsg sendmsg(MSG_INTERRUPT)
	s_mov_b32 m0, ttmp2
.LBB6_1735:                             ; =>This Inner Loop Header: Depth=1
	s_sethalt 5
	s_branch .LBB6_1735
.LBB6_1736:
	s_trap 2
	s_sendmsg_rtn_b32 s0, sendmsg(MSG_RTN_GET_DOORBELL)
	s_mov_b32 ttmp2, m0
	s_waitcnt lgkmcnt(0)
	s_and_b32 s0, s0, 0x3ff
	s_delay_alu instid0(SALU_CYCLE_1) | instskip(NEXT) | instid1(SALU_CYCLE_1)
	s_bitset1_b32 s0, 10
	s_mov_b32 m0, s0
	s_sendmsg sendmsg(MSG_INTERRUPT)
	s_mov_b32 m0, ttmp2
.LBB6_1737:                             ; =>This Inner Loop Header: Depth=1
	s_sethalt 5
	s_branch .LBB6_1737
.LBB6_1738:
	s_trap 2
	s_sendmsg_rtn_b32 s0, sendmsg(MSG_RTN_GET_DOORBELL)
	s_mov_b32 ttmp2, m0
	s_waitcnt lgkmcnt(0)
	s_and_b32 s0, s0, 0x3ff
	s_delay_alu instid0(SALU_CYCLE_1) | instskip(NEXT) | instid1(SALU_CYCLE_1)
	s_bitset1_b32 s0, 10
	s_mov_b32 m0, s0
	s_sendmsg sendmsg(MSG_INTERRUPT)
	s_mov_b32 m0, ttmp2
.LBB6_1739:                             ; =>This Inner Loop Header: Depth=1
	s_sethalt 5
	s_branch .LBB6_1739
.LBB6_1740:
	s_trap 2
	s_sendmsg_rtn_b32 s0, sendmsg(MSG_RTN_GET_DOORBELL)
	s_mov_b32 ttmp2, m0
	s_waitcnt lgkmcnt(0)
	s_and_b32 s0, s0, 0x3ff
	s_delay_alu instid0(SALU_CYCLE_1) | instskip(NEXT) | instid1(SALU_CYCLE_1)
	s_bitset1_b32 s0, 10
	s_mov_b32 m0, s0
	s_sendmsg sendmsg(MSG_INTERRUPT)
	s_mov_b32 m0, ttmp2
.LBB6_1741:                             ; =>This Inner Loop Header: Depth=1
	s_sethalt 5
	s_branch .LBB6_1741
.LBB6_1742:
	s_trap 2
	s_sendmsg_rtn_b32 s0, sendmsg(MSG_RTN_GET_DOORBELL)
	s_mov_b32 ttmp2, m0
	s_waitcnt lgkmcnt(0)
	s_and_b32 s0, s0, 0x3ff
	s_delay_alu instid0(SALU_CYCLE_1) | instskip(NEXT) | instid1(SALU_CYCLE_1)
	s_bitset1_b32 s0, 10
	s_mov_b32 m0, s0
	s_sendmsg sendmsg(MSG_INTERRUPT)
	s_mov_b32 m0, ttmp2
.LBB6_1743:                             ; =>This Inner Loop Header: Depth=1
	s_sethalt 5
	s_branch .LBB6_1743
.LBB6_1744:
	s_trap 2
	s_sendmsg_rtn_b32 s0, sendmsg(MSG_RTN_GET_DOORBELL)
	s_mov_b32 ttmp2, m0
	s_waitcnt lgkmcnt(0)
	s_and_b32 s0, s0, 0x3ff
	s_delay_alu instid0(SALU_CYCLE_1) | instskip(NEXT) | instid1(SALU_CYCLE_1)
	s_bitset1_b32 s0, 10
	s_mov_b32 m0, s0
	s_sendmsg sendmsg(MSG_INTERRUPT)
	s_mov_b32 m0, ttmp2
.LBB6_1745:                             ; =>This Inner Loop Header: Depth=1
	s_sethalt 5
	s_branch .LBB6_1745
.LBB6_1746:
	s_trap 2
	s_sendmsg_rtn_b32 s0, sendmsg(MSG_RTN_GET_DOORBELL)
	s_mov_b32 ttmp2, m0
	s_waitcnt lgkmcnt(0)
	s_and_b32 s0, s0, 0x3ff
	s_delay_alu instid0(SALU_CYCLE_1) | instskip(NEXT) | instid1(SALU_CYCLE_1)
	s_bitset1_b32 s0, 10
	s_mov_b32 m0, s0
	s_sendmsg sendmsg(MSG_INTERRUPT)
	s_mov_b32 m0, ttmp2
.LBB6_1747:                             ; =>This Inner Loop Header: Depth=1
	s_sethalt 5
	s_branch .LBB6_1747
.LBB6_1748:
	s_trap 2
	s_sendmsg_rtn_b32 s0, sendmsg(MSG_RTN_GET_DOORBELL)
	s_mov_b32 ttmp2, m0
	s_waitcnt lgkmcnt(0)
	s_and_b32 s0, s0, 0x3ff
	s_delay_alu instid0(SALU_CYCLE_1) | instskip(NEXT) | instid1(SALU_CYCLE_1)
	s_bitset1_b32 s0, 10
	s_mov_b32 m0, s0
	s_sendmsg sendmsg(MSG_INTERRUPT)
	s_mov_b32 m0, ttmp2
.LBB6_1749:                             ; =>This Inner Loop Header: Depth=1
	s_sethalt 5
	s_branch .LBB6_1749
.LBB6_1750:
	s_trap 2
	s_sendmsg_rtn_b32 s0, sendmsg(MSG_RTN_GET_DOORBELL)
	s_mov_b32 ttmp2, m0
	s_waitcnt lgkmcnt(0)
	s_and_b32 s0, s0, 0x3ff
	s_delay_alu instid0(SALU_CYCLE_1) | instskip(NEXT) | instid1(SALU_CYCLE_1)
	s_bitset1_b32 s0, 10
	s_mov_b32 m0, s0
	s_sendmsg sendmsg(MSG_INTERRUPT)
	s_mov_b32 m0, ttmp2
.LBB6_1751:                             ; =>This Inner Loop Header: Depth=1
	s_sethalt 5
	s_branch .LBB6_1751
.LBB6_1752:
	s_trap 2
	s_sendmsg_rtn_b32 s0, sendmsg(MSG_RTN_GET_DOORBELL)
	s_mov_b32 ttmp2, m0
	s_waitcnt lgkmcnt(0)
	s_and_b32 s0, s0, 0x3ff
	s_delay_alu instid0(SALU_CYCLE_1) | instskip(NEXT) | instid1(SALU_CYCLE_1)
	s_bitset1_b32 s0, 10
	s_mov_b32 m0, s0
	s_sendmsg sendmsg(MSG_INTERRUPT)
	s_mov_b32 m0, ttmp2
.LBB6_1753:                             ; =>This Inner Loop Header: Depth=1
	s_sethalt 5
	s_branch .LBB6_1753
.LBB6_1754:
	s_trap 2
	s_sendmsg_rtn_b32 s0, sendmsg(MSG_RTN_GET_DOORBELL)
	s_mov_b32 ttmp2, m0
	s_waitcnt lgkmcnt(0)
	s_and_b32 s0, s0, 0x3ff
	s_delay_alu instid0(SALU_CYCLE_1) | instskip(NEXT) | instid1(SALU_CYCLE_1)
	s_bitset1_b32 s0, 10
	s_mov_b32 m0, s0
	s_sendmsg sendmsg(MSG_INTERRUPT)
	s_mov_b32 m0, ttmp2
.LBB6_1755:                             ; =>This Inner Loop Header: Depth=1
	s_sethalt 5
	s_branch .LBB6_1755
.LBB6_1756:
	s_trap 2
	s_sendmsg_rtn_b32 s0, sendmsg(MSG_RTN_GET_DOORBELL)
	s_mov_b32 ttmp2, m0
	s_waitcnt lgkmcnt(0)
	s_and_b32 s0, s0, 0x3ff
	s_delay_alu instid0(SALU_CYCLE_1) | instskip(NEXT) | instid1(SALU_CYCLE_1)
	s_bitset1_b32 s0, 10
	s_mov_b32 m0, s0
	s_sendmsg sendmsg(MSG_INTERRUPT)
	s_mov_b32 m0, ttmp2
.LBB6_1757:                             ; =>This Inner Loop Header: Depth=1
	s_sethalt 5
	s_branch .LBB6_1757
.LBB6_1758:
	s_trap 2
	s_sendmsg_rtn_b32 s0, sendmsg(MSG_RTN_GET_DOORBELL)
	s_mov_b32 ttmp2, m0
	s_waitcnt lgkmcnt(0)
	s_and_b32 s0, s0, 0x3ff
	s_delay_alu instid0(SALU_CYCLE_1) | instskip(NEXT) | instid1(SALU_CYCLE_1)
	s_bitset1_b32 s0, 10
	s_mov_b32 m0, s0
	s_sendmsg sendmsg(MSG_INTERRUPT)
	s_mov_b32 m0, ttmp2
.LBB6_1759:                             ; =>This Inner Loop Header: Depth=1
	s_sethalt 5
	s_branch .LBB6_1759
.LBB6_1760:
	s_trap 2
	s_sendmsg_rtn_b32 s0, sendmsg(MSG_RTN_GET_DOORBELL)
	s_mov_b32 ttmp2, m0
	s_waitcnt lgkmcnt(0)
	s_and_b32 s0, s0, 0x3ff
	s_delay_alu instid0(SALU_CYCLE_1) | instskip(NEXT) | instid1(SALU_CYCLE_1)
	s_bitset1_b32 s0, 10
	s_mov_b32 m0, s0
	s_sendmsg sendmsg(MSG_INTERRUPT)
	s_mov_b32 m0, ttmp2
.LBB6_1761:                             ; =>This Inner Loop Header: Depth=1
	s_sethalt 5
	s_branch .LBB6_1761
.LBB6_1762:
	s_trap 2
	s_sendmsg_rtn_b32 s0, sendmsg(MSG_RTN_GET_DOORBELL)
	s_mov_b32 ttmp2, m0
	s_waitcnt lgkmcnt(0)
	s_and_b32 s0, s0, 0x3ff
	s_delay_alu instid0(SALU_CYCLE_1) | instskip(NEXT) | instid1(SALU_CYCLE_1)
	s_bitset1_b32 s0, 10
	s_mov_b32 m0, s0
	s_sendmsg sendmsg(MSG_INTERRUPT)
	s_mov_b32 m0, ttmp2
.LBB6_1763:                             ; =>This Inner Loop Header: Depth=1
	s_sethalt 5
	s_branch .LBB6_1763
.LBB6_1764:
	s_trap 2
	s_sendmsg_rtn_b32 s0, sendmsg(MSG_RTN_GET_DOORBELL)
	s_mov_b32 ttmp2, m0
	s_waitcnt lgkmcnt(0)
	s_and_b32 s0, s0, 0x3ff
	s_delay_alu instid0(SALU_CYCLE_1) | instskip(NEXT) | instid1(SALU_CYCLE_1)
	s_bitset1_b32 s0, 10
	s_mov_b32 m0, s0
	s_sendmsg sendmsg(MSG_INTERRUPT)
	s_mov_b32 m0, ttmp2
.LBB6_1765:                             ; =>This Inner Loop Header: Depth=1
	s_sethalt 5
	s_branch .LBB6_1765
.LBB6_1766:
	s_trap 2
	s_sendmsg_rtn_b32 s0, sendmsg(MSG_RTN_GET_DOORBELL)
	s_mov_b32 ttmp2, m0
	s_waitcnt lgkmcnt(0)
	s_and_b32 s0, s0, 0x3ff
	s_delay_alu instid0(SALU_CYCLE_1) | instskip(NEXT) | instid1(SALU_CYCLE_1)
	s_bitset1_b32 s0, 10
	s_mov_b32 m0, s0
	s_sendmsg sendmsg(MSG_INTERRUPT)
	s_mov_b32 m0, ttmp2
.LBB6_1767:                             ; =>This Inner Loop Header: Depth=1
	s_sethalt 5
	s_branch .LBB6_1767
.LBB6_1768:
	s_trap 2
	s_sendmsg_rtn_b32 s0, sendmsg(MSG_RTN_GET_DOORBELL)
	s_mov_b32 ttmp2, m0
	s_waitcnt lgkmcnt(0)
	s_and_b32 s0, s0, 0x3ff
	s_delay_alu instid0(SALU_CYCLE_1) | instskip(NEXT) | instid1(SALU_CYCLE_1)
	s_bitset1_b32 s0, 10
	s_mov_b32 m0, s0
	s_sendmsg sendmsg(MSG_INTERRUPT)
	s_mov_b32 m0, ttmp2
.LBB6_1769:                             ; =>This Inner Loop Header: Depth=1
	s_sethalt 5
	s_branch .LBB6_1769
.LBB6_1770:
	s_trap 2
	s_sendmsg_rtn_b32 s0, sendmsg(MSG_RTN_GET_DOORBELL)
	s_mov_b32 ttmp2, m0
	s_waitcnt lgkmcnt(0)
	s_and_b32 s0, s0, 0x3ff
	s_delay_alu instid0(SALU_CYCLE_1) | instskip(NEXT) | instid1(SALU_CYCLE_1)
	s_bitset1_b32 s0, 10
	s_mov_b32 m0, s0
	s_sendmsg sendmsg(MSG_INTERRUPT)
	s_mov_b32 m0, ttmp2
.LBB6_1771:                             ; =>This Inner Loop Header: Depth=1
	s_sethalt 5
	s_branch .LBB6_1771
.LBB6_1772:
	s_trap 2
	s_sendmsg_rtn_b32 s0, sendmsg(MSG_RTN_GET_DOORBELL)
	s_mov_b32 ttmp2, m0
	s_waitcnt lgkmcnt(0)
	s_and_b32 s0, s0, 0x3ff
	s_delay_alu instid0(SALU_CYCLE_1) | instskip(NEXT) | instid1(SALU_CYCLE_1)
	s_bitset1_b32 s0, 10
	s_mov_b32 m0, s0
	s_sendmsg sendmsg(MSG_INTERRUPT)
	s_mov_b32 m0, ttmp2
.LBB6_1773:                             ; =>This Inner Loop Header: Depth=1
	s_sethalt 5
	s_branch .LBB6_1773
.LBB6_1774:
	s_trap 2
	s_sendmsg_rtn_b32 s0, sendmsg(MSG_RTN_GET_DOORBELL)
	s_mov_b32 ttmp2, m0
	s_waitcnt lgkmcnt(0)
	s_and_b32 s0, s0, 0x3ff
	s_delay_alu instid0(SALU_CYCLE_1) | instskip(NEXT) | instid1(SALU_CYCLE_1)
	s_bitset1_b32 s0, 10
	s_mov_b32 m0, s0
	s_sendmsg sendmsg(MSG_INTERRUPT)
	s_mov_b32 m0, ttmp2
.LBB6_1775:                             ; =>This Inner Loop Header: Depth=1
	s_sethalt 5
	s_branch .LBB6_1775
.LBB6_1776:
	s_trap 2
	s_sendmsg_rtn_b32 s0, sendmsg(MSG_RTN_GET_DOORBELL)
	s_mov_b32 ttmp2, m0
	s_waitcnt lgkmcnt(0)
	s_and_b32 s0, s0, 0x3ff
	s_delay_alu instid0(SALU_CYCLE_1) | instskip(NEXT) | instid1(SALU_CYCLE_1)
	s_bitset1_b32 s0, 10
	s_mov_b32 m0, s0
	s_sendmsg sendmsg(MSG_INTERRUPT)
	s_mov_b32 m0, ttmp2
.LBB6_1777:                             ; =>This Inner Loop Header: Depth=1
	s_sethalt 5
	s_branch .LBB6_1777
.LBB6_1778:
	s_trap 2
	s_sendmsg_rtn_b32 s0, sendmsg(MSG_RTN_GET_DOORBELL)
	s_mov_b32 ttmp2, m0
	s_waitcnt lgkmcnt(0)
	s_and_b32 s0, s0, 0x3ff
	s_delay_alu instid0(SALU_CYCLE_1) | instskip(NEXT) | instid1(SALU_CYCLE_1)
	s_bitset1_b32 s0, 10
	s_mov_b32 m0, s0
	s_sendmsg sendmsg(MSG_INTERRUPT)
	s_mov_b32 m0, ttmp2
.LBB6_1779:                             ; =>This Inner Loop Header: Depth=1
	s_sethalt 5
	s_branch .LBB6_1779
.LBB6_1780:
	s_trap 2
	s_sendmsg_rtn_b32 s0, sendmsg(MSG_RTN_GET_DOORBELL)
	s_mov_b32 ttmp2, m0
	s_waitcnt lgkmcnt(0)
	s_and_b32 s0, s0, 0x3ff
	s_delay_alu instid0(SALU_CYCLE_1) | instskip(NEXT) | instid1(SALU_CYCLE_1)
	s_bitset1_b32 s0, 10
	s_mov_b32 m0, s0
	s_sendmsg sendmsg(MSG_INTERRUPT)
	s_mov_b32 m0, ttmp2
.LBB6_1781:                             ; =>This Inner Loop Header: Depth=1
	s_sethalt 5
	s_branch .LBB6_1781
.LBB6_1782:
	s_trap 2
	s_sendmsg_rtn_b32 s0, sendmsg(MSG_RTN_GET_DOORBELL)
	s_mov_b32 ttmp2, m0
	s_waitcnt lgkmcnt(0)
	s_and_b32 s0, s0, 0x3ff
	s_delay_alu instid0(SALU_CYCLE_1) | instskip(NEXT) | instid1(SALU_CYCLE_1)
	s_bitset1_b32 s0, 10
	s_mov_b32 m0, s0
	s_sendmsg sendmsg(MSG_INTERRUPT)
	s_mov_b32 m0, ttmp2
.LBB6_1783:                             ; =>This Inner Loop Header: Depth=1
	s_sethalt 5
	s_branch .LBB6_1783
.LBB6_1784:
	s_trap 2
	s_sendmsg_rtn_b32 s0, sendmsg(MSG_RTN_GET_DOORBELL)
	s_mov_b32 ttmp2, m0
	s_waitcnt lgkmcnt(0)
	s_and_b32 s0, s0, 0x3ff
	s_delay_alu instid0(SALU_CYCLE_1) | instskip(NEXT) | instid1(SALU_CYCLE_1)
	s_bitset1_b32 s0, 10
	s_mov_b32 m0, s0
	s_sendmsg sendmsg(MSG_INTERRUPT)
	s_mov_b32 m0, ttmp2
.LBB6_1785:                             ; =>This Inner Loop Header: Depth=1
	s_sethalt 5
	s_branch .LBB6_1785
.LBB6_1786:
	s_trap 2
	s_sendmsg_rtn_b32 s0, sendmsg(MSG_RTN_GET_DOORBELL)
	s_mov_b32 ttmp2, m0
	s_waitcnt lgkmcnt(0)
	s_and_b32 s0, s0, 0x3ff
	s_delay_alu instid0(SALU_CYCLE_1) | instskip(NEXT) | instid1(SALU_CYCLE_1)
	s_bitset1_b32 s0, 10
	s_mov_b32 m0, s0
	s_sendmsg sendmsg(MSG_INTERRUPT)
	s_mov_b32 m0, ttmp2
.LBB6_1787:                             ; =>This Inner Loop Header: Depth=1
	s_sethalt 5
	s_branch .LBB6_1787
.LBB6_1788:
	s_trap 2
	s_sendmsg_rtn_b32 s0, sendmsg(MSG_RTN_GET_DOORBELL)
	s_mov_b32 ttmp2, m0
	s_waitcnt lgkmcnt(0)
	s_and_b32 s0, s0, 0x3ff
	s_delay_alu instid0(SALU_CYCLE_1) | instskip(NEXT) | instid1(SALU_CYCLE_1)
	s_bitset1_b32 s0, 10
	s_mov_b32 m0, s0
	s_sendmsg sendmsg(MSG_INTERRUPT)
	s_mov_b32 m0, ttmp2
.LBB6_1789:                             ; =>This Inner Loop Header: Depth=1
	s_sethalt 5
	s_branch .LBB6_1789
.LBB6_1790:
	s_trap 2
	s_sendmsg_rtn_b32 s0, sendmsg(MSG_RTN_GET_DOORBELL)
	s_mov_b32 ttmp2, m0
	s_waitcnt lgkmcnt(0)
	s_and_b32 s0, s0, 0x3ff
	s_delay_alu instid0(SALU_CYCLE_1) | instskip(NEXT) | instid1(SALU_CYCLE_1)
	s_bitset1_b32 s0, 10
	s_mov_b32 m0, s0
	s_sendmsg sendmsg(MSG_INTERRUPT)
	s_mov_b32 m0, ttmp2
.LBB6_1791:                             ; =>This Inner Loop Header: Depth=1
	s_sethalt 5
	s_branch .LBB6_1791
.LBB6_1792:
	s_trap 2
	s_sendmsg_rtn_b32 s0, sendmsg(MSG_RTN_GET_DOORBELL)
	s_mov_b32 ttmp2, m0
	s_waitcnt lgkmcnt(0)
	s_and_b32 s0, s0, 0x3ff
	s_delay_alu instid0(SALU_CYCLE_1) | instskip(NEXT) | instid1(SALU_CYCLE_1)
	s_bitset1_b32 s0, 10
	s_mov_b32 m0, s0
	s_sendmsg sendmsg(MSG_INTERRUPT)
	s_mov_b32 m0, ttmp2
.LBB6_1793:                             ; =>This Inner Loop Header: Depth=1
	s_sethalt 5
	s_branch .LBB6_1793
.LBB6_1794:
	s_trap 2
	s_sendmsg_rtn_b32 s0, sendmsg(MSG_RTN_GET_DOORBELL)
	s_mov_b32 ttmp2, m0
	s_waitcnt lgkmcnt(0)
	s_and_b32 s0, s0, 0x3ff
	s_delay_alu instid0(SALU_CYCLE_1) | instskip(NEXT) | instid1(SALU_CYCLE_1)
	s_bitset1_b32 s0, 10
	s_mov_b32 m0, s0
	s_sendmsg sendmsg(MSG_INTERRUPT)
	s_mov_b32 m0, ttmp2
.LBB6_1795:                             ; =>This Inner Loop Header: Depth=1
	s_sethalt 5
	s_branch .LBB6_1795
.LBB6_1796:
	s_trap 2
	s_sendmsg_rtn_b32 s0, sendmsg(MSG_RTN_GET_DOORBELL)
	s_mov_b32 ttmp2, m0
	s_waitcnt lgkmcnt(0)
	s_and_b32 s0, s0, 0x3ff
	s_delay_alu instid0(SALU_CYCLE_1) | instskip(NEXT) | instid1(SALU_CYCLE_1)
	s_bitset1_b32 s0, 10
	s_mov_b32 m0, s0
	s_sendmsg sendmsg(MSG_INTERRUPT)
	s_mov_b32 m0, ttmp2
.LBB6_1797:                             ; =>This Inner Loop Header: Depth=1
	s_sethalt 5
	s_branch .LBB6_1797
.LBB6_1798:
	s_trap 2
	s_sendmsg_rtn_b32 s0, sendmsg(MSG_RTN_GET_DOORBELL)
	s_mov_b32 ttmp2, m0
	s_waitcnt lgkmcnt(0)
	s_and_b32 s0, s0, 0x3ff
	s_delay_alu instid0(SALU_CYCLE_1) | instskip(NEXT) | instid1(SALU_CYCLE_1)
	s_bitset1_b32 s0, 10
	s_mov_b32 m0, s0
	s_sendmsg sendmsg(MSG_INTERRUPT)
	s_mov_b32 m0, ttmp2
.LBB6_1799:                             ; =>This Inner Loop Header: Depth=1
	s_sethalt 5
	s_branch .LBB6_1799
.LBB6_1800:
	s_trap 2
	s_sendmsg_rtn_b32 s0, sendmsg(MSG_RTN_GET_DOORBELL)
	s_mov_b32 ttmp2, m0
	s_waitcnt lgkmcnt(0)
	s_and_b32 s0, s0, 0x3ff
	s_delay_alu instid0(SALU_CYCLE_1) | instskip(NEXT) | instid1(SALU_CYCLE_1)
	s_bitset1_b32 s0, 10
	s_mov_b32 m0, s0
	s_sendmsg sendmsg(MSG_INTERRUPT)
	s_mov_b32 m0, ttmp2
.LBB6_1801:                             ; =>This Inner Loop Header: Depth=1
	s_sethalt 5
	s_branch .LBB6_1801
.LBB6_1802:
	s_trap 2
	s_sendmsg_rtn_b32 s0, sendmsg(MSG_RTN_GET_DOORBELL)
	s_mov_b32 ttmp2, m0
	s_waitcnt lgkmcnt(0)
	s_and_b32 s0, s0, 0x3ff
	s_delay_alu instid0(SALU_CYCLE_1) | instskip(NEXT) | instid1(SALU_CYCLE_1)
	s_bitset1_b32 s0, 10
	s_mov_b32 m0, s0
	s_sendmsg sendmsg(MSG_INTERRUPT)
	s_mov_b32 m0, ttmp2
.LBB6_1803:                             ; =>This Inner Loop Header: Depth=1
	s_sethalt 5
	s_branch .LBB6_1803
.LBB6_1804:
	s_trap 2
	s_sendmsg_rtn_b32 s0, sendmsg(MSG_RTN_GET_DOORBELL)
	s_mov_b32 ttmp2, m0
	s_waitcnt lgkmcnt(0)
	s_and_b32 s0, s0, 0x3ff
	s_delay_alu instid0(SALU_CYCLE_1) | instskip(NEXT) | instid1(SALU_CYCLE_1)
	s_bitset1_b32 s0, 10
	s_mov_b32 m0, s0
	s_sendmsg sendmsg(MSG_INTERRUPT)
	s_mov_b32 m0, ttmp2
.LBB6_1805:                             ; =>This Inner Loop Header: Depth=1
	s_sethalt 5
	s_branch .LBB6_1805
.LBB6_1806:
	s_trap 2
	s_sendmsg_rtn_b32 s0, sendmsg(MSG_RTN_GET_DOORBELL)
	s_mov_b32 ttmp2, m0
	s_waitcnt lgkmcnt(0)
	s_and_b32 s0, s0, 0x3ff
	s_delay_alu instid0(SALU_CYCLE_1) | instskip(NEXT) | instid1(SALU_CYCLE_1)
	s_bitset1_b32 s0, 10
	s_mov_b32 m0, s0
	s_sendmsg sendmsg(MSG_INTERRUPT)
	s_mov_b32 m0, ttmp2
.LBB6_1807:                             ; =>This Inner Loop Header: Depth=1
	s_sethalt 5
	s_branch .LBB6_1807
.LBB6_1808:
	s_trap 2
	s_sendmsg_rtn_b32 s0, sendmsg(MSG_RTN_GET_DOORBELL)
	s_mov_b32 ttmp2, m0
	s_waitcnt lgkmcnt(0)
	s_and_b32 s0, s0, 0x3ff
	s_delay_alu instid0(SALU_CYCLE_1) | instskip(NEXT) | instid1(SALU_CYCLE_1)
	s_bitset1_b32 s0, 10
	s_mov_b32 m0, s0
	s_sendmsg sendmsg(MSG_INTERRUPT)
	s_mov_b32 m0, ttmp2
.LBB6_1809:                             ; =>This Inner Loop Header: Depth=1
	s_sethalt 5
	s_branch .LBB6_1809
.LBB6_1810:
	s_trap 2
	s_sendmsg_rtn_b32 s0, sendmsg(MSG_RTN_GET_DOORBELL)
	s_mov_b32 ttmp2, m0
	s_waitcnt lgkmcnt(0)
	s_and_b32 s0, s0, 0x3ff
	s_delay_alu instid0(SALU_CYCLE_1) | instskip(NEXT) | instid1(SALU_CYCLE_1)
	s_bitset1_b32 s0, 10
	s_mov_b32 m0, s0
	s_sendmsg sendmsg(MSG_INTERRUPT)
	s_mov_b32 m0, ttmp2
.LBB6_1811:                             ; =>This Inner Loop Header: Depth=1
	s_sethalt 5
	s_branch .LBB6_1811
.LBB6_1812:
	s_trap 2
	s_sendmsg_rtn_b32 s0, sendmsg(MSG_RTN_GET_DOORBELL)
	s_mov_b32 ttmp2, m0
	s_waitcnt lgkmcnt(0)
	s_and_b32 s0, s0, 0x3ff
	s_delay_alu instid0(SALU_CYCLE_1) | instskip(NEXT) | instid1(SALU_CYCLE_1)
	s_bitset1_b32 s0, 10
	s_mov_b32 m0, s0
	s_sendmsg sendmsg(MSG_INTERRUPT)
	s_mov_b32 m0, ttmp2
.LBB6_1813:                             ; =>This Inner Loop Header: Depth=1
	s_sethalt 5
	s_branch .LBB6_1813
.LBB6_1814:
	s_trap 2
	s_sendmsg_rtn_b32 s0, sendmsg(MSG_RTN_GET_DOORBELL)
	s_mov_b32 ttmp2, m0
	s_waitcnt lgkmcnt(0)
	s_and_b32 s0, s0, 0x3ff
	s_delay_alu instid0(SALU_CYCLE_1) | instskip(NEXT) | instid1(SALU_CYCLE_1)
	s_bitset1_b32 s0, 10
	s_mov_b32 m0, s0
	s_sendmsg sendmsg(MSG_INTERRUPT)
	s_mov_b32 m0, ttmp2
.LBB6_1815:                             ; =>This Inner Loop Header: Depth=1
	s_sethalt 5
	s_branch .LBB6_1815
.LBB6_1816:
	s_trap 2
	s_sendmsg_rtn_b32 s0, sendmsg(MSG_RTN_GET_DOORBELL)
	s_mov_b32 ttmp2, m0
	s_waitcnt lgkmcnt(0)
	s_and_b32 s0, s0, 0x3ff
	s_delay_alu instid0(SALU_CYCLE_1) | instskip(NEXT) | instid1(SALU_CYCLE_1)
	s_bitset1_b32 s0, 10
	s_mov_b32 m0, s0
	s_sendmsg sendmsg(MSG_INTERRUPT)
	s_mov_b32 m0, ttmp2
.LBB6_1817:                             ; =>This Inner Loop Header: Depth=1
	s_sethalt 5
	s_branch .LBB6_1817
.LBB6_1818:
	s_trap 2
	s_sendmsg_rtn_b32 s0, sendmsg(MSG_RTN_GET_DOORBELL)
	s_mov_b32 ttmp2, m0
	s_waitcnt lgkmcnt(0)
	s_and_b32 s0, s0, 0x3ff
	s_delay_alu instid0(SALU_CYCLE_1) | instskip(NEXT) | instid1(SALU_CYCLE_1)
	s_bitset1_b32 s0, 10
	s_mov_b32 m0, s0
	s_sendmsg sendmsg(MSG_INTERRUPT)
	s_mov_b32 m0, ttmp2
.LBB6_1819:                             ; =>This Inner Loop Header: Depth=1
	s_sethalt 5
	s_branch .LBB6_1819
.LBB6_1820:
	s_trap 2
	s_sendmsg_rtn_b32 s0, sendmsg(MSG_RTN_GET_DOORBELL)
	s_mov_b32 ttmp2, m0
	s_waitcnt lgkmcnt(0)
	s_and_b32 s0, s0, 0x3ff
	s_delay_alu instid0(SALU_CYCLE_1) | instskip(NEXT) | instid1(SALU_CYCLE_1)
	s_bitset1_b32 s0, 10
	s_mov_b32 m0, s0
	s_sendmsg sendmsg(MSG_INTERRUPT)
	s_mov_b32 m0, ttmp2
.LBB6_1821:                             ; =>This Inner Loop Header: Depth=1
	s_sethalt 5
	s_branch .LBB6_1821
.LBB6_1822:
	s_trap 2
	s_sendmsg_rtn_b32 s0, sendmsg(MSG_RTN_GET_DOORBELL)
	s_mov_b32 ttmp2, m0
	s_waitcnt lgkmcnt(0)
	s_and_b32 s0, s0, 0x3ff
	s_delay_alu instid0(SALU_CYCLE_1) | instskip(NEXT) | instid1(SALU_CYCLE_1)
	s_bitset1_b32 s0, 10
	s_mov_b32 m0, s0
	s_sendmsg sendmsg(MSG_INTERRUPT)
	s_mov_b32 m0, ttmp2
.LBB6_1823:                             ; =>This Inner Loop Header: Depth=1
	s_sethalt 5
	s_branch .LBB6_1823
.LBB6_1824:
	s_trap 2
	s_sendmsg_rtn_b32 s0, sendmsg(MSG_RTN_GET_DOORBELL)
	s_mov_b32 ttmp2, m0
	s_waitcnt lgkmcnt(0)
	s_and_b32 s0, s0, 0x3ff
	s_delay_alu instid0(SALU_CYCLE_1) | instskip(NEXT) | instid1(SALU_CYCLE_1)
	s_bitset1_b32 s0, 10
	s_mov_b32 m0, s0
	s_sendmsg sendmsg(MSG_INTERRUPT)
	s_mov_b32 m0, ttmp2
.LBB6_1825:                             ; =>This Inner Loop Header: Depth=1
	s_sethalt 5
	s_branch .LBB6_1825
.LBB6_1826:
	s_trap 2
	s_sendmsg_rtn_b32 s0, sendmsg(MSG_RTN_GET_DOORBELL)
	s_mov_b32 ttmp2, m0
	s_waitcnt lgkmcnt(0)
	s_and_b32 s0, s0, 0x3ff
	s_delay_alu instid0(SALU_CYCLE_1) | instskip(NEXT) | instid1(SALU_CYCLE_1)
	s_bitset1_b32 s0, 10
	s_mov_b32 m0, s0
	s_sendmsg sendmsg(MSG_INTERRUPT)
	s_mov_b32 m0, ttmp2
.LBB6_1827:                             ; =>This Inner Loop Header: Depth=1
	s_sethalt 5
	s_branch .LBB6_1827
.LBB6_1828:
	s_trap 2
	s_sendmsg_rtn_b32 s0, sendmsg(MSG_RTN_GET_DOORBELL)
	s_mov_b32 ttmp2, m0
	s_waitcnt lgkmcnt(0)
	s_and_b32 s0, s0, 0x3ff
	s_delay_alu instid0(SALU_CYCLE_1) | instskip(NEXT) | instid1(SALU_CYCLE_1)
	s_bitset1_b32 s0, 10
	s_mov_b32 m0, s0
	s_sendmsg sendmsg(MSG_INTERRUPT)
	s_mov_b32 m0, ttmp2
.LBB6_1829:                             ; =>This Inner Loop Header: Depth=1
	s_sethalt 5
	s_branch .LBB6_1829
.LBB6_1830:
	s_trap 2
	s_sendmsg_rtn_b32 s0, sendmsg(MSG_RTN_GET_DOORBELL)
	s_mov_b32 ttmp2, m0
	s_waitcnt lgkmcnt(0)
	s_and_b32 s0, s0, 0x3ff
	s_delay_alu instid0(SALU_CYCLE_1) | instskip(NEXT) | instid1(SALU_CYCLE_1)
	s_bitset1_b32 s0, 10
	s_mov_b32 m0, s0
	s_sendmsg sendmsg(MSG_INTERRUPT)
	s_mov_b32 m0, ttmp2
.LBB6_1831:                             ; =>This Inner Loop Header: Depth=1
	s_sethalt 5
	s_branch .LBB6_1831
.LBB6_1832:
	s_trap 2
	s_sendmsg_rtn_b32 s0, sendmsg(MSG_RTN_GET_DOORBELL)
	s_mov_b32 ttmp2, m0
	s_waitcnt lgkmcnt(0)
	s_and_b32 s0, s0, 0x3ff
	s_delay_alu instid0(SALU_CYCLE_1) | instskip(NEXT) | instid1(SALU_CYCLE_1)
	s_bitset1_b32 s0, 10
	s_mov_b32 m0, s0
	s_sendmsg sendmsg(MSG_INTERRUPT)
	s_mov_b32 m0, ttmp2
.LBB6_1833:                             ; =>This Inner Loop Header: Depth=1
	s_sethalt 5
	s_branch .LBB6_1833
.LBB6_1834:
	s_trap 2
	s_sendmsg_rtn_b32 s0, sendmsg(MSG_RTN_GET_DOORBELL)
	s_mov_b32 ttmp2, m0
	s_waitcnt lgkmcnt(0)
	s_and_b32 s0, s0, 0x3ff
	s_delay_alu instid0(SALU_CYCLE_1) | instskip(NEXT) | instid1(SALU_CYCLE_1)
	s_bitset1_b32 s0, 10
	s_mov_b32 m0, s0
	s_sendmsg sendmsg(MSG_INTERRUPT)
	s_mov_b32 m0, ttmp2
.LBB6_1835:                             ; =>This Inner Loop Header: Depth=1
	s_sethalt 5
	s_branch .LBB6_1835
.LBB6_1836:
	s_trap 2
	s_sendmsg_rtn_b32 s0, sendmsg(MSG_RTN_GET_DOORBELL)
	s_mov_b32 ttmp2, m0
	s_waitcnt lgkmcnt(0)
	s_and_b32 s0, s0, 0x3ff
	s_delay_alu instid0(SALU_CYCLE_1) | instskip(NEXT) | instid1(SALU_CYCLE_1)
	s_bitset1_b32 s0, 10
	s_mov_b32 m0, s0
	s_sendmsg sendmsg(MSG_INTERRUPT)
	s_mov_b32 m0, ttmp2
.LBB6_1837:                             ; =>This Inner Loop Header: Depth=1
	s_sethalt 5
	s_branch .LBB6_1837
.LBB6_1838:
	s_trap 2
	s_sendmsg_rtn_b32 s0, sendmsg(MSG_RTN_GET_DOORBELL)
	s_mov_b32 ttmp2, m0
	s_waitcnt lgkmcnt(0)
	s_and_b32 s0, s0, 0x3ff
	s_delay_alu instid0(SALU_CYCLE_1) | instskip(NEXT) | instid1(SALU_CYCLE_1)
	s_bitset1_b32 s0, 10
	s_mov_b32 m0, s0
	s_sendmsg sendmsg(MSG_INTERRUPT)
	s_mov_b32 m0, ttmp2
.LBB6_1839:                             ; =>This Inner Loop Header: Depth=1
	s_sethalt 5
	s_branch .LBB6_1839
.LBB6_1840:
	s_trap 2
	s_sendmsg_rtn_b32 s0, sendmsg(MSG_RTN_GET_DOORBELL)
	s_mov_b32 ttmp2, m0
	s_waitcnt lgkmcnt(0)
	s_and_b32 s0, s0, 0x3ff
	s_delay_alu instid0(SALU_CYCLE_1) | instskip(NEXT) | instid1(SALU_CYCLE_1)
	s_bitset1_b32 s0, 10
	s_mov_b32 m0, s0
	s_sendmsg sendmsg(MSG_INTERRUPT)
	s_mov_b32 m0, ttmp2
.LBB6_1841:                             ; =>This Inner Loop Header: Depth=1
	s_sethalt 5
	s_branch .LBB6_1841
.LBB6_1842:
	s_trap 2
	s_sendmsg_rtn_b32 s0, sendmsg(MSG_RTN_GET_DOORBELL)
	s_mov_b32 ttmp2, m0
	s_waitcnt lgkmcnt(0)
	s_and_b32 s0, s0, 0x3ff
	s_delay_alu instid0(SALU_CYCLE_1) | instskip(NEXT) | instid1(SALU_CYCLE_1)
	s_bitset1_b32 s0, 10
	s_mov_b32 m0, s0
	s_sendmsg sendmsg(MSG_INTERRUPT)
	s_mov_b32 m0, ttmp2
.LBB6_1843:                             ; =>This Inner Loop Header: Depth=1
	s_sethalt 5
	s_branch .LBB6_1843
.LBB6_1844:
	s_trap 2
	s_sendmsg_rtn_b32 s0, sendmsg(MSG_RTN_GET_DOORBELL)
	s_mov_b32 ttmp2, m0
	s_waitcnt lgkmcnt(0)
	s_and_b32 s0, s0, 0x3ff
	s_delay_alu instid0(SALU_CYCLE_1) | instskip(NEXT) | instid1(SALU_CYCLE_1)
	s_bitset1_b32 s0, 10
	s_mov_b32 m0, s0
	s_sendmsg sendmsg(MSG_INTERRUPT)
	s_mov_b32 m0, ttmp2
.LBB6_1845:                             ; =>This Inner Loop Header: Depth=1
	s_sethalt 5
	s_branch .LBB6_1845
.LBB6_1846:
	s_trap 2
	s_sendmsg_rtn_b32 s0, sendmsg(MSG_RTN_GET_DOORBELL)
	s_mov_b32 ttmp2, m0
	s_waitcnt lgkmcnt(0)
	s_and_b32 s0, s0, 0x3ff
	s_delay_alu instid0(SALU_CYCLE_1) | instskip(NEXT) | instid1(SALU_CYCLE_1)
	s_bitset1_b32 s0, 10
	s_mov_b32 m0, s0
	s_sendmsg sendmsg(MSG_INTERRUPT)
	s_mov_b32 m0, ttmp2
.LBB6_1847:                             ; =>This Inner Loop Header: Depth=1
	s_sethalt 5
	s_branch .LBB6_1847
.LBB6_1848:
	s_trap 2
	s_sendmsg_rtn_b32 s0, sendmsg(MSG_RTN_GET_DOORBELL)
	s_mov_b32 ttmp2, m0
	s_waitcnt lgkmcnt(0)
	s_and_b32 s0, s0, 0x3ff
	s_delay_alu instid0(SALU_CYCLE_1) | instskip(NEXT) | instid1(SALU_CYCLE_1)
	s_bitset1_b32 s0, 10
	s_mov_b32 m0, s0
	s_sendmsg sendmsg(MSG_INTERRUPT)
	s_mov_b32 m0, ttmp2
.LBB6_1849:                             ; =>This Inner Loop Header: Depth=1
	s_sethalt 5
	s_branch .LBB6_1849
.LBB6_1850:
	s_trap 2
	s_sendmsg_rtn_b32 s0, sendmsg(MSG_RTN_GET_DOORBELL)
	s_mov_b32 ttmp2, m0
	s_waitcnt lgkmcnt(0)
	s_and_b32 s0, s0, 0x3ff
	s_delay_alu instid0(SALU_CYCLE_1) | instskip(NEXT) | instid1(SALU_CYCLE_1)
	s_bitset1_b32 s0, 10
	s_mov_b32 m0, s0
	s_sendmsg sendmsg(MSG_INTERRUPT)
	s_mov_b32 m0, ttmp2
.LBB6_1851:                             ; =>This Inner Loop Header: Depth=1
	s_sethalt 5
	s_branch .LBB6_1851
.LBB6_1852:
	s_trap 2
	s_sendmsg_rtn_b32 s0, sendmsg(MSG_RTN_GET_DOORBELL)
	s_mov_b32 ttmp2, m0
	s_waitcnt lgkmcnt(0)
	s_and_b32 s0, s0, 0x3ff
	s_delay_alu instid0(SALU_CYCLE_1) | instskip(NEXT) | instid1(SALU_CYCLE_1)
	s_bitset1_b32 s0, 10
	s_mov_b32 m0, s0
	s_sendmsg sendmsg(MSG_INTERRUPT)
	s_mov_b32 m0, ttmp2
.LBB6_1853:                             ; =>This Inner Loop Header: Depth=1
	s_sethalt 5
	s_branch .LBB6_1853
.LBB6_1854:
	s_trap 2
	s_sendmsg_rtn_b32 s0, sendmsg(MSG_RTN_GET_DOORBELL)
	s_mov_b32 ttmp2, m0
	s_waitcnt lgkmcnt(0)
	s_and_b32 s0, s0, 0x3ff
	s_delay_alu instid0(SALU_CYCLE_1) | instskip(NEXT) | instid1(SALU_CYCLE_1)
	s_bitset1_b32 s0, 10
	s_mov_b32 m0, s0
	s_sendmsg sendmsg(MSG_INTERRUPT)
	s_mov_b32 m0, ttmp2
.LBB6_1855:                             ; =>This Inner Loop Header: Depth=1
	s_sethalt 5
	s_branch .LBB6_1855
.LBB6_1856:
	s_trap 2
	s_sendmsg_rtn_b32 s0, sendmsg(MSG_RTN_GET_DOORBELL)
	s_mov_b32 ttmp2, m0
	s_waitcnt lgkmcnt(0)
	s_and_b32 s0, s0, 0x3ff
	s_delay_alu instid0(SALU_CYCLE_1) | instskip(NEXT) | instid1(SALU_CYCLE_1)
	s_bitset1_b32 s0, 10
	s_mov_b32 m0, s0
	s_sendmsg sendmsg(MSG_INTERRUPT)
	s_mov_b32 m0, ttmp2
.LBB6_1857:                             ; =>This Inner Loop Header: Depth=1
	s_sethalt 5
	s_branch .LBB6_1857
.LBB6_1858:
	s_trap 2
	s_sendmsg_rtn_b32 s0, sendmsg(MSG_RTN_GET_DOORBELL)
	s_mov_b32 ttmp2, m0
	s_waitcnt lgkmcnt(0)
	s_and_b32 s0, s0, 0x3ff
	s_delay_alu instid0(SALU_CYCLE_1) | instskip(NEXT) | instid1(SALU_CYCLE_1)
	s_bitset1_b32 s0, 10
	s_mov_b32 m0, s0
	s_sendmsg sendmsg(MSG_INTERRUPT)
	s_mov_b32 m0, ttmp2
.LBB6_1859:                             ; =>This Inner Loop Header: Depth=1
	s_sethalt 5
	s_branch .LBB6_1859
.LBB6_1860:
	s_trap 2
	s_sendmsg_rtn_b32 s0, sendmsg(MSG_RTN_GET_DOORBELL)
	s_mov_b32 ttmp2, m0
	s_waitcnt lgkmcnt(0)
	s_and_b32 s0, s0, 0x3ff
	s_delay_alu instid0(SALU_CYCLE_1) | instskip(NEXT) | instid1(SALU_CYCLE_1)
	s_bitset1_b32 s0, 10
	s_mov_b32 m0, s0
	s_sendmsg sendmsg(MSG_INTERRUPT)
	s_mov_b32 m0, ttmp2
.LBB6_1861:                             ; =>This Inner Loop Header: Depth=1
	s_sethalt 5
	s_branch .LBB6_1861
.LBB6_1862:
	s_trap 2
	s_sendmsg_rtn_b32 s0, sendmsg(MSG_RTN_GET_DOORBELL)
	s_mov_b32 ttmp2, m0
	s_waitcnt lgkmcnt(0)
	s_and_b32 s0, s0, 0x3ff
	s_delay_alu instid0(SALU_CYCLE_1) | instskip(NEXT) | instid1(SALU_CYCLE_1)
	s_bitset1_b32 s0, 10
	s_mov_b32 m0, s0
	s_sendmsg sendmsg(MSG_INTERRUPT)
	s_mov_b32 m0, ttmp2
.LBB6_1863:                             ; =>This Inner Loop Header: Depth=1
	s_sethalt 5
	s_branch .LBB6_1863
.LBB6_1864:
	s_trap 2
	s_sendmsg_rtn_b32 s0, sendmsg(MSG_RTN_GET_DOORBELL)
	s_mov_b32 ttmp2, m0
	s_waitcnt lgkmcnt(0)
	s_and_b32 s0, s0, 0x3ff
	s_delay_alu instid0(SALU_CYCLE_1) | instskip(NEXT) | instid1(SALU_CYCLE_1)
	s_bitset1_b32 s0, 10
	s_mov_b32 m0, s0
	s_sendmsg sendmsg(MSG_INTERRUPT)
	s_mov_b32 m0, ttmp2
.LBB6_1865:                             ; =>This Inner Loop Header: Depth=1
	s_sethalt 5
	s_branch .LBB6_1865
.LBB6_1866:
	s_trap 2
	s_sendmsg_rtn_b32 s0, sendmsg(MSG_RTN_GET_DOORBELL)
	s_mov_b32 ttmp2, m0
	s_waitcnt lgkmcnt(0)
	s_and_b32 s0, s0, 0x3ff
	s_delay_alu instid0(SALU_CYCLE_1) | instskip(NEXT) | instid1(SALU_CYCLE_1)
	s_bitset1_b32 s0, 10
	s_mov_b32 m0, s0
	s_sendmsg sendmsg(MSG_INTERRUPT)
	s_mov_b32 m0, ttmp2
.LBB6_1867:                             ; =>This Inner Loop Header: Depth=1
	s_sethalt 5
	s_branch .LBB6_1867
.LBB6_1868:
	s_trap 2
	s_sendmsg_rtn_b32 s0, sendmsg(MSG_RTN_GET_DOORBELL)
	s_mov_b32 ttmp2, m0
	s_waitcnt lgkmcnt(0)
	s_and_b32 s0, s0, 0x3ff
	s_delay_alu instid0(SALU_CYCLE_1) | instskip(NEXT) | instid1(SALU_CYCLE_1)
	s_bitset1_b32 s0, 10
	s_mov_b32 m0, s0
	s_sendmsg sendmsg(MSG_INTERRUPT)
	s_mov_b32 m0, ttmp2
.LBB6_1869:                             ; =>This Inner Loop Header: Depth=1
	s_sethalt 5
	s_branch .LBB6_1869
.LBB6_1870:
	s_trap 2
	s_sendmsg_rtn_b32 s0, sendmsg(MSG_RTN_GET_DOORBELL)
	s_mov_b32 ttmp2, m0
	s_waitcnt lgkmcnt(0)
	s_and_b32 s0, s0, 0x3ff
	s_delay_alu instid0(SALU_CYCLE_1) | instskip(NEXT) | instid1(SALU_CYCLE_1)
	s_bitset1_b32 s0, 10
	s_mov_b32 m0, s0
	s_sendmsg sendmsg(MSG_INTERRUPT)
	s_mov_b32 m0, ttmp2
.LBB6_1871:                             ; =>This Inner Loop Header: Depth=1
	s_sethalt 5
	s_branch .LBB6_1871
.LBB6_1872:
	s_trap 2
	s_sendmsg_rtn_b32 s0, sendmsg(MSG_RTN_GET_DOORBELL)
	s_mov_b32 ttmp2, m0
	s_waitcnt lgkmcnt(0)
	s_and_b32 s0, s0, 0x3ff
	s_delay_alu instid0(SALU_CYCLE_1) | instskip(NEXT) | instid1(SALU_CYCLE_1)
	s_bitset1_b32 s0, 10
	s_mov_b32 m0, s0
	s_sendmsg sendmsg(MSG_INTERRUPT)
	s_mov_b32 m0, ttmp2
.LBB6_1873:                             ; =>This Inner Loop Header: Depth=1
	s_sethalt 5
	s_branch .LBB6_1873
.LBB6_1874:
	s_trap 2
	s_sendmsg_rtn_b32 s0, sendmsg(MSG_RTN_GET_DOORBELL)
	s_mov_b32 ttmp2, m0
	s_waitcnt lgkmcnt(0)
	s_and_b32 s0, s0, 0x3ff
	s_delay_alu instid0(SALU_CYCLE_1) | instskip(NEXT) | instid1(SALU_CYCLE_1)
	s_bitset1_b32 s0, 10
	s_mov_b32 m0, s0
	s_sendmsg sendmsg(MSG_INTERRUPT)
	s_mov_b32 m0, ttmp2
.LBB6_1875:                             ; =>This Inner Loop Header: Depth=1
	s_sethalt 5
	s_branch .LBB6_1875
.LBB6_1876:
	s_trap 2
	s_sendmsg_rtn_b32 s0, sendmsg(MSG_RTN_GET_DOORBELL)
	s_mov_b32 ttmp2, m0
	s_waitcnt lgkmcnt(0)
	s_and_b32 s0, s0, 0x3ff
	s_delay_alu instid0(SALU_CYCLE_1) | instskip(NEXT) | instid1(SALU_CYCLE_1)
	s_bitset1_b32 s0, 10
	s_mov_b32 m0, s0
	s_sendmsg sendmsg(MSG_INTERRUPT)
	s_mov_b32 m0, ttmp2
.LBB6_1877:                             ; =>This Inner Loop Header: Depth=1
	s_sethalt 5
	s_branch .LBB6_1877
.LBB6_1878:
	s_trap 2
	s_sendmsg_rtn_b32 s0, sendmsg(MSG_RTN_GET_DOORBELL)
	s_mov_b32 ttmp2, m0
	s_waitcnt lgkmcnt(0)
	s_and_b32 s0, s0, 0x3ff
	s_delay_alu instid0(SALU_CYCLE_1) | instskip(NEXT) | instid1(SALU_CYCLE_1)
	s_bitset1_b32 s0, 10
	s_mov_b32 m0, s0
	s_sendmsg sendmsg(MSG_INTERRUPT)
	s_mov_b32 m0, ttmp2
.LBB6_1879:                             ; =>This Inner Loop Header: Depth=1
	s_sethalt 5
	s_branch .LBB6_1879
.LBB6_1880:
	s_trap 2
	s_sendmsg_rtn_b32 s0, sendmsg(MSG_RTN_GET_DOORBELL)
	s_mov_b32 ttmp2, m0
	s_waitcnt lgkmcnt(0)
	s_and_b32 s0, s0, 0x3ff
	s_delay_alu instid0(SALU_CYCLE_1) | instskip(NEXT) | instid1(SALU_CYCLE_1)
	s_bitset1_b32 s0, 10
	s_mov_b32 m0, s0
	s_sendmsg sendmsg(MSG_INTERRUPT)
	s_mov_b32 m0, ttmp2
.LBB6_1881:                             ; =>This Inner Loop Header: Depth=1
	s_sethalt 5
	s_branch .LBB6_1881
.LBB6_1882:
	s_trap 2
	s_sendmsg_rtn_b32 s0, sendmsg(MSG_RTN_GET_DOORBELL)
	s_mov_b32 ttmp2, m0
	s_waitcnt lgkmcnt(0)
	s_and_b32 s0, s0, 0x3ff
	s_delay_alu instid0(SALU_CYCLE_1) | instskip(NEXT) | instid1(SALU_CYCLE_1)
	s_bitset1_b32 s0, 10
	s_mov_b32 m0, s0
	s_sendmsg sendmsg(MSG_INTERRUPT)
	s_mov_b32 m0, ttmp2
.LBB6_1883:                             ; =>This Inner Loop Header: Depth=1
	s_sethalt 5
	s_branch .LBB6_1883
.LBB6_1884:
	s_trap 2
	s_sendmsg_rtn_b32 s0, sendmsg(MSG_RTN_GET_DOORBELL)
	s_mov_b32 ttmp2, m0
	s_waitcnt lgkmcnt(0)
	s_and_b32 s0, s0, 0x3ff
	s_delay_alu instid0(SALU_CYCLE_1) | instskip(NEXT) | instid1(SALU_CYCLE_1)
	s_bitset1_b32 s0, 10
	s_mov_b32 m0, s0
	s_sendmsg sendmsg(MSG_INTERRUPT)
	s_mov_b32 m0, ttmp2
.LBB6_1885:                             ; =>This Inner Loop Header: Depth=1
	s_sethalt 5
	s_branch .LBB6_1885
.LBB6_1886:
	s_trap 2
	s_sendmsg_rtn_b32 s0, sendmsg(MSG_RTN_GET_DOORBELL)
	s_mov_b32 ttmp2, m0
	s_waitcnt lgkmcnt(0)
	s_and_b32 s0, s0, 0x3ff
	s_delay_alu instid0(SALU_CYCLE_1) | instskip(NEXT) | instid1(SALU_CYCLE_1)
	s_bitset1_b32 s0, 10
	s_mov_b32 m0, s0
	s_sendmsg sendmsg(MSG_INTERRUPT)
	s_mov_b32 m0, ttmp2
.LBB6_1887:                             ; =>This Inner Loop Header: Depth=1
	s_sethalt 5
	s_branch .LBB6_1887
.LBB6_1888:
	s_trap 2
	s_sendmsg_rtn_b32 s0, sendmsg(MSG_RTN_GET_DOORBELL)
	s_mov_b32 ttmp2, m0
	s_waitcnt lgkmcnt(0)
	s_and_b32 s0, s0, 0x3ff
	s_delay_alu instid0(SALU_CYCLE_1) | instskip(NEXT) | instid1(SALU_CYCLE_1)
	s_bitset1_b32 s0, 10
	s_mov_b32 m0, s0
	s_sendmsg sendmsg(MSG_INTERRUPT)
	s_mov_b32 m0, ttmp2
.LBB6_1889:                             ; =>This Inner Loop Header: Depth=1
	s_sethalt 5
	s_branch .LBB6_1889
.LBB6_1890:
	s_trap 2
	s_sendmsg_rtn_b32 s0, sendmsg(MSG_RTN_GET_DOORBELL)
	s_mov_b32 ttmp2, m0
	s_waitcnt lgkmcnt(0)
	s_and_b32 s0, s0, 0x3ff
	s_delay_alu instid0(SALU_CYCLE_1) | instskip(NEXT) | instid1(SALU_CYCLE_1)
	s_bitset1_b32 s0, 10
	s_mov_b32 m0, s0
	s_sendmsg sendmsg(MSG_INTERRUPT)
	s_mov_b32 m0, ttmp2
.LBB6_1891:                             ; =>This Inner Loop Header: Depth=1
	s_sethalt 5
	s_branch .LBB6_1891
.LBB6_1892:
	s_trap 2
	s_sendmsg_rtn_b32 s0, sendmsg(MSG_RTN_GET_DOORBELL)
	s_mov_b32 ttmp2, m0
	s_waitcnt lgkmcnt(0)
	s_and_b32 s0, s0, 0x3ff
	s_delay_alu instid0(SALU_CYCLE_1) | instskip(NEXT) | instid1(SALU_CYCLE_1)
	s_bitset1_b32 s0, 10
	s_mov_b32 m0, s0
	s_sendmsg sendmsg(MSG_INTERRUPT)
	s_mov_b32 m0, ttmp2
.LBB6_1893:                             ; =>This Inner Loop Header: Depth=1
	s_sethalt 5
	s_branch .LBB6_1893
.LBB6_1894:
	s_trap 2
	s_sendmsg_rtn_b32 s0, sendmsg(MSG_RTN_GET_DOORBELL)
	s_mov_b32 ttmp2, m0
	s_waitcnt lgkmcnt(0)
	s_and_b32 s0, s0, 0x3ff
	s_delay_alu instid0(SALU_CYCLE_1) | instskip(NEXT) | instid1(SALU_CYCLE_1)
	s_bitset1_b32 s0, 10
	s_mov_b32 m0, s0
	s_sendmsg sendmsg(MSG_INTERRUPT)
	s_mov_b32 m0, ttmp2
.LBB6_1895:                             ; =>This Inner Loop Header: Depth=1
	s_sethalt 5
	s_branch .LBB6_1895
.LBB6_1896:
	s_trap 2
	s_sendmsg_rtn_b32 s0, sendmsg(MSG_RTN_GET_DOORBELL)
	s_mov_b32 ttmp2, m0
	s_waitcnt lgkmcnt(0)
	s_and_b32 s0, s0, 0x3ff
	s_delay_alu instid0(SALU_CYCLE_1) | instskip(NEXT) | instid1(SALU_CYCLE_1)
	s_bitset1_b32 s0, 10
	s_mov_b32 m0, s0
	s_sendmsg sendmsg(MSG_INTERRUPT)
	s_mov_b32 m0, ttmp2
.LBB6_1897:                             ; =>This Inner Loop Header: Depth=1
	s_sethalt 5
	s_branch .LBB6_1897
.LBB6_1898:
	s_trap 2
	s_sendmsg_rtn_b32 s0, sendmsg(MSG_RTN_GET_DOORBELL)
	s_mov_b32 ttmp2, m0
	s_waitcnt lgkmcnt(0)
	s_and_b32 s0, s0, 0x3ff
	s_delay_alu instid0(SALU_CYCLE_1) | instskip(NEXT) | instid1(SALU_CYCLE_1)
	s_bitset1_b32 s0, 10
	s_mov_b32 m0, s0
	s_sendmsg sendmsg(MSG_INTERRUPT)
	s_mov_b32 m0, ttmp2
.LBB6_1899:                             ; =>This Inner Loop Header: Depth=1
	s_sethalt 5
	s_branch .LBB6_1899
.LBB6_1900:
	s_trap 2
	s_sendmsg_rtn_b32 s0, sendmsg(MSG_RTN_GET_DOORBELL)
	s_mov_b32 ttmp2, m0
	s_waitcnt lgkmcnt(0)
	s_and_b32 s0, s0, 0x3ff
	s_delay_alu instid0(SALU_CYCLE_1) | instskip(NEXT) | instid1(SALU_CYCLE_1)
	s_bitset1_b32 s0, 10
	s_mov_b32 m0, s0
	s_sendmsg sendmsg(MSG_INTERRUPT)
	s_mov_b32 m0, ttmp2
.LBB6_1901:                             ; =>This Inner Loop Header: Depth=1
	s_sethalt 5
	s_branch .LBB6_1901
.LBB6_1902:
	s_trap 2
	s_sendmsg_rtn_b32 s0, sendmsg(MSG_RTN_GET_DOORBELL)
	s_mov_b32 ttmp2, m0
	s_waitcnt lgkmcnt(0)
	s_and_b32 s0, s0, 0x3ff
	s_delay_alu instid0(SALU_CYCLE_1) | instskip(NEXT) | instid1(SALU_CYCLE_1)
	s_bitset1_b32 s0, 10
	s_mov_b32 m0, s0
	s_sendmsg sendmsg(MSG_INTERRUPT)
	s_mov_b32 m0, ttmp2
.LBB6_1903:                             ; =>This Inner Loop Header: Depth=1
	s_sethalt 5
	s_branch .LBB6_1903
.LBB6_1904:
	s_trap 2
	s_sendmsg_rtn_b32 s0, sendmsg(MSG_RTN_GET_DOORBELL)
	s_mov_b32 ttmp2, m0
	s_waitcnt lgkmcnt(0)
	s_and_b32 s0, s0, 0x3ff
	s_delay_alu instid0(SALU_CYCLE_1) | instskip(NEXT) | instid1(SALU_CYCLE_1)
	s_bitset1_b32 s0, 10
	s_mov_b32 m0, s0
	s_sendmsg sendmsg(MSG_INTERRUPT)
	s_mov_b32 m0, ttmp2
.LBB6_1905:                             ; =>This Inner Loop Header: Depth=1
	s_sethalt 5
	s_branch .LBB6_1905
.LBB6_1906:
	s_trap 2
	s_sendmsg_rtn_b32 s0, sendmsg(MSG_RTN_GET_DOORBELL)
	s_mov_b32 ttmp2, m0
	s_waitcnt lgkmcnt(0)
	s_and_b32 s0, s0, 0x3ff
	s_delay_alu instid0(SALU_CYCLE_1) | instskip(NEXT) | instid1(SALU_CYCLE_1)
	s_bitset1_b32 s0, 10
	s_mov_b32 m0, s0
	s_sendmsg sendmsg(MSG_INTERRUPT)
	s_mov_b32 m0, ttmp2
.LBB6_1907:                             ; =>This Inner Loop Header: Depth=1
	s_sethalt 5
	s_branch .LBB6_1907
.LBB6_1908:
	s_trap 2
	s_sendmsg_rtn_b32 s0, sendmsg(MSG_RTN_GET_DOORBELL)
	s_mov_b32 ttmp2, m0
	s_waitcnt lgkmcnt(0)
	s_and_b32 s0, s0, 0x3ff
	s_delay_alu instid0(SALU_CYCLE_1) | instskip(NEXT) | instid1(SALU_CYCLE_1)
	s_bitset1_b32 s0, 10
	s_mov_b32 m0, s0
	s_sendmsg sendmsg(MSG_INTERRUPT)
	s_mov_b32 m0, ttmp2
.LBB6_1909:                             ; =>This Inner Loop Header: Depth=1
	s_sethalt 5
	s_branch .LBB6_1909
.LBB6_1910:
	s_trap 2
	s_sendmsg_rtn_b32 s0, sendmsg(MSG_RTN_GET_DOORBELL)
	s_mov_b32 ttmp2, m0
	s_waitcnt lgkmcnt(0)
	s_and_b32 s0, s0, 0x3ff
	s_delay_alu instid0(SALU_CYCLE_1) | instskip(NEXT) | instid1(SALU_CYCLE_1)
	s_bitset1_b32 s0, 10
	s_mov_b32 m0, s0
	s_sendmsg sendmsg(MSG_INTERRUPT)
	s_mov_b32 m0, ttmp2
.LBB6_1911:                             ; =>This Inner Loop Header: Depth=1
	s_sethalt 5
	s_branch .LBB6_1911
.LBB6_1912:
	s_trap 2
	s_sendmsg_rtn_b32 s0, sendmsg(MSG_RTN_GET_DOORBELL)
	s_mov_b32 ttmp2, m0
	s_waitcnt lgkmcnt(0)
	s_and_b32 s0, s0, 0x3ff
	s_delay_alu instid0(SALU_CYCLE_1) | instskip(NEXT) | instid1(SALU_CYCLE_1)
	s_bitset1_b32 s0, 10
	s_mov_b32 m0, s0
	s_sendmsg sendmsg(MSG_INTERRUPT)
	s_mov_b32 m0, ttmp2
.LBB6_1913:                             ; =>This Inner Loop Header: Depth=1
	s_sethalt 5
	s_branch .LBB6_1913
.LBB6_1914:
	s_trap 2
	s_sendmsg_rtn_b32 s0, sendmsg(MSG_RTN_GET_DOORBELL)
	s_mov_b32 ttmp2, m0
	s_waitcnt lgkmcnt(0)
	s_and_b32 s0, s0, 0x3ff
	s_delay_alu instid0(SALU_CYCLE_1) | instskip(NEXT) | instid1(SALU_CYCLE_1)
	s_bitset1_b32 s0, 10
	s_mov_b32 m0, s0
	s_sendmsg sendmsg(MSG_INTERRUPT)
	s_mov_b32 m0, ttmp2
.LBB6_1915:                             ; =>This Inner Loop Header: Depth=1
	s_sethalt 5
	s_branch .LBB6_1915
.LBB6_1916:
	s_trap 2
	s_sendmsg_rtn_b32 s0, sendmsg(MSG_RTN_GET_DOORBELL)
	s_mov_b32 ttmp2, m0
	s_waitcnt lgkmcnt(0)
	s_and_b32 s0, s0, 0x3ff
	s_delay_alu instid0(SALU_CYCLE_1) | instskip(NEXT) | instid1(SALU_CYCLE_1)
	s_bitset1_b32 s0, 10
	s_mov_b32 m0, s0
	s_sendmsg sendmsg(MSG_INTERRUPT)
	s_mov_b32 m0, ttmp2
.LBB6_1917:                             ; =>This Inner Loop Header: Depth=1
	s_sethalt 5
	s_branch .LBB6_1917
.LBB6_1918:
	s_trap 2
	s_sendmsg_rtn_b32 s0, sendmsg(MSG_RTN_GET_DOORBELL)
	s_mov_b32 ttmp2, m0
	s_waitcnt lgkmcnt(0)
	s_and_b32 s0, s0, 0x3ff
	s_delay_alu instid0(SALU_CYCLE_1) | instskip(NEXT) | instid1(SALU_CYCLE_1)
	s_bitset1_b32 s0, 10
	s_mov_b32 m0, s0
	s_sendmsg sendmsg(MSG_INTERRUPT)
	s_mov_b32 m0, ttmp2
.LBB6_1919:                             ; =>This Inner Loop Header: Depth=1
	s_sethalt 5
	s_branch .LBB6_1919
.LBB6_1920:
	s_trap 2
	s_sendmsg_rtn_b32 s0, sendmsg(MSG_RTN_GET_DOORBELL)
	s_mov_b32 ttmp2, m0
	s_waitcnt lgkmcnt(0)
	s_and_b32 s0, s0, 0x3ff
	s_delay_alu instid0(SALU_CYCLE_1) | instskip(NEXT) | instid1(SALU_CYCLE_1)
	s_bitset1_b32 s0, 10
	s_mov_b32 m0, s0
	s_sendmsg sendmsg(MSG_INTERRUPT)
	s_mov_b32 m0, ttmp2
.LBB6_1921:                             ; =>This Inner Loop Header: Depth=1
	s_sethalt 5
	s_branch .LBB6_1921
.LBB6_1922:
	s_trap 2
	s_sendmsg_rtn_b32 s0, sendmsg(MSG_RTN_GET_DOORBELL)
	s_mov_b32 ttmp2, m0
	s_waitcnt lgkmcnt(0)
	s_and_b32 s0, s0, 0x3ff
	s_delay_alu instid0(SALU_CYCLE_1) | instskip(NEXT) | instid1(SALU_CYCLE_1)
	s_bitset1_b32 s0, 10
	s_mov_b32 m0, s0
	s_sendmsg sendmsg(MSG_INTERRUPT)
	s_mov_b32 m0, ttmp2
.LBB6_1923:                             ; =>This Inner Loop Header: Depth=1
	s_sethalt 5
	s_branch .LBB6_1923
.LBB6_1924:
	s_trap 2
	s_sendmsg_rtn_b32 s0, sendmsg(MSG_RTN_GET_DOORBELL)
	s_mov_b32 ttmp2, m0
	s_waitcnt lgkmcnt(0)
	s_and_b32 s0, s0, 0x3ff
	s_delay_alu instid0(SALU_CYCLE_1) | instskip(NEXT) | instid1(SALU_CYCLE_1)
	s_bitset1_b32 s0, 10
	s_mov_b32 m0, s0
	s_sendmsg sendmsg(MSG_INTERRUPT)
	s_mov_b32 m0, ttmp2
.LBB6_1925:                             ; =>This Inner Loop Header: Depth=1
	s_sethalt 5
	s_branch .LBB6_1925
.LBB6_1926:
	s_trap 2
	s_sendmsg_rtn_b32 s0, sendmsg(MSG_RTN_GET_DOORBELL)
	s_mov_b32 ttmp2, m0
	s_waitcnt lgkmcnt(0)
	s_and_b32 s0, s0, 0x3ff
	s_delay_alu instid0(SALU_CYCLE_1) | instskip(NEXT) | instid1(SALU_CYCLE_1)
	s_bitset1_b32 s0, 10
	s_mov_b32 m0, s0
	s_sendmsg sendmsg(MSG_INTERRUPT)
	s_mov_b32 m0, ttmp2
.LBB6_1927:                             ; =>This Inner Loop Header: Depth=1
	s_sethalt 5
	s_branch .LBB6_1927
.LBB6_1928:
	s_trap 2
	s_sendmsg_rtn_b32 s0, sendmsg(MSG_RTN_GET_DOORBELL)
	s_mov_b32 ttmp2, m0
	s_waitcnt lgkmcnt(0)
	s_and_b32 s0, s0, 0x3ff
	s_delay_alu instid0(SALU_CYCLE_1) | instskip(NEXT) | instid1(SALU_CYCLE_1)
	s_bitset1_b32 s0, 10
	s_mov_b32 m0, s0
	s_sendmsg sendmsg(MSG_INTERRUPT)
	s_mov_b32 m0, ttmp2
.LBB6_1929:                             ; =>This Inner Loop Header: Depth=1
	s_sethalt 5
	s_branch .LBB6_1929
.LBB6_1930:
	s_trap 2
	s_sendmsg_rtn_b32 s0, sendmsg(MSG_RTN_GET_DOORBELL)
	s_mov_b32 ttmp2, m0
	s_waitcnt lgkmcnt(0)
	s_and_b32 s0, s0, 0x3ff
	s_delay_alu instid0(SALU_CYCLE_1) | instskip(NEXT) | instid1(SALU_CYCLE_1)
	s_bitset1_b32 s0, 10
	s_mov_b32 m0, s0
	s_sendmsg sendmsg(MSG_INTERRUPT)
	s_mov_b32 m0, ttmp2
.LBB6_1931:                             ; =>This Inner Loop Header: Depth=1
	s_sethalt 5
	s_branch .LBB6_1931
.LBB6_1932:
	s_trap 2
	s_sendmsg_rtn_b32 s0, sendmsg(MSG_RTN_GET_DOORBELL)
	s_mov_b32 ttmp2, m0
	s_waitcnt lgkmcnt(0)
	s_and_b32 s0, s0, 0x3ff
	s_delay_alu instid0(SALU_CYCLE_1) | instskip(NEXT) | instid1(SALU_CYCLE_1)
	s_bitset1_b32 s0, 10
	s_mov_b32 m0, s0
	s_sendmsg sendmsg(MSG_INTERRUPT)
	s_mov_b32 m0, ttmp2
.LBB6_1933:                             ; =>This Inner Loop Header: Depth=1
	s_sethalt 5
	s_branch .LBB6_1933
.LBB6_1934:
	s_trap 2
	s_sendmsg_rtn_b32 s0, sendmsg(MSG_RTN_GET_DOORBELL)
	s_mov_b32 ttmp2, m0
	s_waitcnt lgkmcnt(0)
	s_and_b32 s0, s0, 0x3ff
	s_delay_alu instid0(SALU_CYCLE_1) | instskip(NEXT) | instid1(SALU_CYCLE_1)
	s_bitset1_b32 s0, 10
	s_mov_b32 m0, s0
	s_sendmsg sendmsg(MSG_INTERRUPT)
	s_mov_b32 m0, ttmp2
.LBB6_1935:                             ; =>This Inner Loop Header: Depth=1
	s_sethalt 5
	s_branch .LBB6_1935
.LBB6_1936:
	s_trap 2
	s_sendmsg_rtn_b32 s0, sendmsg(MSG_RTN_GET_DOORBELL)
	s_mov_b32 ttmp2, m0
	s_waitcnt lgkmcnt(0)
	s_and_b32 s0, s0, 0x3ff
	s_delay_alu instid0(SALU_CYCLE_1) | instskip(NEXT) | instid1(SALU_CYCLE_1)
	s_bitset1_b32 s0, 10
	s_mov_b32 m0, s0
	s_sendmsg sendmsg(MSG_INTERRUPT)
	s_mov_b32 m0, ttmp2
.LBB6_1937:                             ; =>This Inner Loop Header: Depth=1
	s_sethalt 5
	s_branch .LBB6_1937
.LBB6_1938:
	s_trap 2
	s_sendmsg_rtn_b32 s0, sendmsg(MSG_RTN_GET_DOORBELL)
	s_mov_b32 ttmp2, m0
	s_waitcnt lgkmcnt(0)
	s_and_b32 s0, s0, 0x3ff
	s_delay_alu instid0(SALU_CYCLE_1) | instskip(NEXT) | instid1(SALU_CYCLE_1)
	s_bitset1_b32 s0, 10
	s_mov_b32 m0, s0
	s_sendmsg sendmsg(MSG_INTERRUPT)
	s_mov_b32 m0, ttmp2
.LBB6_1939:                             ; =>This Inner Loop Header: Depth=1
	s_sethalt 5
	s_branch .LBB6_1939
.LBB6_1940:
	s_trap 2
	s_sendmsg_rtn_b32 s0, sendmsg(MSG_RTN_GET_DOORBELL)
	s_mov_b32 ttmp2, m0
	s_waitcnt lgkmcnt(0)
	s_and_b32 s0, s0, 0x3ff
	s_delay_alu instid0(SALU_CYCLE_1) | instskip(NEXT) | instid1(SALU_CYCLE_1)
	s_bitset1_b32 s0, 10
	s_mov_b32 m0, s0
	s_sendmsg sendmsg(MSG_INTERRUPT)
	s_mov_b32 m0, ttmp2
.LBB6_1941:                             ; =>This Inner Loop Header: Depth=1
	s_sethalt 5
	s_branch .LBB6_1941
.LBB6_1942:
	s_trap 2
	s_sendmsg_rtn_b32 s0, sendmsg(MSG_RTN_GET_DOORBELL)
	s_mov_b32 ttmp2, m0
	s_waitcnt lgkmcnt(0)
	s_and_b32 s0, s0, 0x3ff
	s_delay_alu instid0(SALU_CYCLE_1) | instskip(NEXT) | instid1(SALU_CYCLE_1)
	s_bitset1_b32 s0, 10
	s_mov_b32 m0, s0
	s_sendmsg sendmsg(MSG_INTERRUPT)
	s_mov_b32 m0, ttmp2
.LBB6_1943:                             ; =>This Inner Loop Header: Depth=1
	s_sethalt 5
	s_branch .LBB6_1943
.LBB6_1944:
	s_trap 2
	s_sendmsg_rtn_b32 s0, sendmsg(MSG_RTN_GET_DOORBELL)
	s_mov_b32 ttmp2, m0
	s_waitcnt lgkmcnt(0)
	s_and_b32 s0, s0, 0x3ff
	s_delay_alu instid0(SALU_CYCLE_1) | instskip(NEXT) | instid1(SALU_CYCLE_1)
	s_bitset1_b32 s0, 10
	s_mov_b32 m0, s0
	s_sendmsg sendmsg(MSG_INTERRUPT)
	s_mov_b32 m0, ttmp2
.LBB6_1945:                             ; =>This Inner Loop Header: Depth=1
	s_sethalt 5
	s_branch .LBB6_1945
.LBB6_1946:
	s_trap 2
	s_sendmsg_rtn_b32 s0, sendmsg(MSG_RTN_GET_DOORBELL)
	s_mov_b32 ttmp2, m0
	s_waitcnt lgkmcnt(0)
	s_and_b32 s0, s0, 0x3ff
	s_delay_alu instid0(SALU_CYCLE_1) | instskip(NEXT) | instid1(SALU_CYCLE_1)
	s_bitset1_b32 s0, 10
	s_mov_b32 m0, s0
	s_sendmsg sendmsg(MSG_INTERRUPT)
	s_mov_b32 m0, ttmp2
.LBB6_1947:                             ; =>This Inner Loop Header: Depth=1
	s_sethalt 5
	s_branch .LBB6_1947
.LBB6_1948:
	s_trap 2
	s_sendmsg_rtn_b32 s0, sendmsg(MSG_RTN_GET_DOORBELL)
	s_mov_b32 ttmp2, m0
	s_waitcnt lgkmcnt(0)
	s_and_b32 s0, s0, 0x3ff
	s_delay_alu instid0(SALU_CYCLE_1) | instskip(NEXT) | instid1(SALU_CYCLE_1)
	s_bitset1_b32 s0, 10
	s_mov_b32 m0, s0
	s_sendmsg sendmsg(MSG_INTERRUPT)
	s_mov_b32 m0, ttmp2
.LBB6_1949:                             ; =>This Inner Loop Header: Depth=1
	s_sethalt 5
	s_branch .LBB6_1949
.LBB6_1950:
	s_trap 2
	s_sendmsg_rtn_b32 s0, sendmsg(MSG_RTN_GET_DOORBELL)
	s_mov_b32 ttmp2, m0
	s_waitcnt lgkmcnt(0)
	s_and_b32 s0, s0, 0x3ff
	s_delay_alu instid0(SALU_CYCLE_1) | instskip(NEXT) | instid1(SALU_CYCLE_1)
	s_bitset1_b32 s0, 10
	s_mov_b32 m0, s0
	s_sendmsg sendmsg(MSG_INTERRUPT)
	s_mov_b32 m0, ttmp2
.LBB6_1951:                             ; =>This Inner Loop Header: Depth=1
	s_sethalt 5
	s_branch .LBB6_1951
.Lfunc_end6:
	.size	_ZN12_GLOBAL__N_17runRingId10FuncMinMaxIdE11ProtoSimpleILi2ELi2ELi0ELi4ELi0ELi0EELi0ELi0ELi4ELi0EEEviiP15ncclDevWorkColl, .Lfunc_end6-_ZN12_GLOBAL__N_17runRingId10FuncMinMaxIdE11ProtoSimpleILi2ELi2ELi0ELi4ELi0ELi0EELi0ELi0ELi4ELi0EEEviiP15ncclDevWorkColl
                                        ; -- End function
	.section	.AMDGPU.csdata,"",@progbits
; Function info:
; codeLenInByte = 59240
; NumSgprs: 45
; NumVgprs: 184
; ScratchSize: 112
; MemoryBound: 1
	.text
	.p2align	2                               ; -- Begin function _Z50ncclDevFunc_AllReduce_RING_SIMPLE_MinMax_f64_0_0_4v
	.type	_Z50ncclDevFunc_AllReduce_RING_SIMPLE_MinMax_f64_0_0_4v,@function
_Z50ncclDevFunc_AllReduce_RING_SIMPLE_MinMax_f64_0_0_4v: ; @_Z50ncclDevFunc_AllReduce_RING_SIMPLE_MinMax_f64_0_0_4v
; %bb.0:
	s_waitcnt vmcnt(0) expcnt(0) lgkmcnt(0)
	s_mov_b32 s0, s33
	s_mov_b32 s33, s32
	s_or_saveexec_b32 s1, -1
	scratch_store_b32 off, v42, s33 offset:16 ; 4-byte Folded Spill
	s_mov_b32 exec_lo, s1
	v_writelane_b32 v42, s0, 17
	s_add_i32 s32, s32, 32
	s_clause 0x3
	scratch_store_b32 off, v40, s33 offset:12
	; meta instruction
	scratch_store_b32 off, v41, s33 offset:8
	; meta instruction
	;; [unrolled: 2-line block ×3, first 2 shown]
	scratch_store_b32 off, v47, s33
	v_writelane_b32 v42, s34, 0
	v_writelane_b32 v42, s35, 1
	;; [unrolled: 1-line block ×17, first 2 shown]
	s_cbranch_execnz .LBB7_7
; %bb.1:
	ds_load_b32 v0, v0
	v_and_b32_e32 v40, 0x3ff, v31
	s_mov_b32 s0, exec_lo
	s_waitcnt lgkmcnt(0)
	s_delay_alu instid0(VALU_DEP_1)
	v_cmpx_lt_i32_e64 v40, v0
	s_cbranch_execz .LBB7_9
; %bb.2:
	s_load_b32 s1, s[8:9], 0x0
	v_mov_b32_e32 v1, 0
	s_waitcnt lgkmcnt(0)
	s_cmp_lt_u32 s12, s1
	s_cselect_b32 s1, 12, 18
	s_delay_alu instid0(SALU_CYCLE_1)
	s_add_u32 s2, s8, s1
	s_addc_u32 s3, s9, 0
	s_mov_b32 s1, 0
	global_load_u16 v1, v1, s[2:3]
	s_cbranch_execnz .LBB7_24
; %bb.3:
	ds_load_b32 v2, v0
	v_mov_b32_e32 v3, v40
                                        ; implicit-def: $vgpr4
	s_waitcnt vmcnt(0) lgkmcnt(0)
	v_mul_lo_u32 v2, v2, v1
	s_branch .LBB7_5
	.p2align	6
.LBB7_4:                                ;   in Loop: Header=BB7_5 Depth=1
	s_or_b32 exec_lo, exec_lo, s2
	v_add_nc_u32_e32 v3, v3, v1
	v_add_nc_u32_e32 v4, v4, v2
	s_delay_alu instid0(VALU_DEP_2) | instskip(SKIP_1) | instid1(SALU_CYCLE_1)
	v_cmp_ge_i32_e32 vcc_lo, v3, v0
	s_or_b32 s1, vcc_lo, s1
	s_and_not1_b32 exec_lo, exec_lo, s1
	s_cbranch_execz .LBB7_9
.LBB7_5:                                ; =>This Inner Loop Header: Depth=1
	ds_load_b32 v5, v4
	s_mov_b32 s2, exec_lo
	s_waitcnt lgkmcnt(0)
	v_and_b32_e32 v5, 0x1000000, v5
	s_delay_alu instid0(VALU_DEP_1)
	v_cmpx_ne_u32_e32 0, v5
	s_cbranch_execz .LBB7_4
; %bb.6:                                ;   in Loop: Header=BB7_5 Depth=1
	ds_load_b64 v[5:6], v4 offset:104
	s_waitcnt lgkmcnt(0)
	flat_load_b64 v[5:6], v[5:6]
	s_waitcnt vmcnt(0) lgkmcnt(0)
	ds_store_b64 v4, v[5:6] offset:104
	s_branch .LBB7_4
.LBB7_7:
	s_trap 2
	s_sendmsg_rtn_b32 s0, sendmsg(MSG_RTN_GET_DOORBELL)
	s_mov_b32 ttmp2, m0
	s_waitcnt lgkmcnt(0)
	s_and_b32 s0, s0, 0x3ff
	s_delay_alu instid0(SALU_CYCLE_1) | instskip(NEXT) | instid1(SALU_CYCLE_1)
	s_bitset1_b32 s0, 10
	s_mov_b32 m0, s0
	s_sendmsg sendmsg(MSG_INTERRUPT)
	s_mov_b32 m0, ttmp2
.LBB7_8:                                ; =>This Inner Loop Header: Depth=1
	s_sethalt 5
	s_branch .LBB7_8
.LBB7_9:
	s_or_b32 exec_lo, exec_lo, s0
	s_waitcnt lgkmcnt(0)
	s_waitcnt_vscnt null, 0x0
	s_barrier
	buffer_gl0_inv
	s_cbranch_execnz .LBB7_22
; %bb.10:
	ds_load_b32 v0, v0
	s_waitcnt lgkmcnt(0)
	v_cmp_gt_i32_e32 vcc_lo, 1, v0
	s_cbranch_vccnz .LBB7_21
; %bb.11:
	s_mov_b32 s48, 0
	s_mov_b64 s[46:47], src_shared_base
.LBB7_12:                               ; =>This Inner Loop Header: Depth=1
	s_cbranch_execnz .LBB7_26
; %bb.13:                               ;   in Loop: Header=BB7_12 Depth=1
	ds_load_b32 v0, v0
	s_cmp_eq_u32 s48, 0
	s_cbranch_scc1 .LBB7_17
; %bb.14:                               ;   in Loop: Header=BB7_12 Depth=1
	s_cbranch_execnz .LBB7_30
; %bb.15:                               ;   in Loop: Header=BB7_12 Depth=1
	s_waitcnt lgkmcnt(0)
	ds_load_b32 v1, v0
	s_waitcnt lgkmcnt(0)
	v_xor_b32_e32 v1, v1, v0
	s_delay_alu instid0(VALU_DEP_1) | instskip(NEXT) | instid1(VALU_DEP_1)
	v_and_b32_e32 v1, 0xff0000, v1
	v_cmp_eq_u32_e32 vcc_lo, 0, v1
	s_cbranch_vccnz .LBB7_17
; %bb.16:                               ;   in Loop: Header=BB7_12 Depth=1
	s_waitcnt_vscnt null, 0x0
	s_barrier
	buffer_gl0_inv
	ds_load_b32 v0, v0
.LBB7_17:                               ;   in Loop: Header=BB7_12 Depth=1
	s_waitcnt lgkmcnt(0)
	v_lshrrev_b32_e32 v0, 11, v0
	s_mov_b32 s46, exec_lo
	s_delay_alu instid0(VALU_DEP_1) | instskip(NEXT) | instid1(VALU_DEP_1)
	v_and_b32_e32 v1, 0x1fe0, v0
	v_cmpx_lt_u32_e64 v40, v1
	s_cbranch_execz .LBB7_19
; %bb.18:                               ;   in Loop: Header=BB7_12 Depth=1
	v_dual_mov_b32 v41, v31 :: v_dual_mov_b32 v0, v40
	v_mov_b32_e32 v3, s47
	s_getpc_b64 s[0:1]
	s_add_u32 s0, s0, _ZN12_GLOBAL__N_17runRingId10FuncMinMaxIdE11ProtoSimpleILi2ELi2ELi0ELi4ELi0ELi0EELi0ELi0ELi4ELi0EEEviiP15ncclDevWorkColl@rel32@lo+4
	s_addc_u32 s1, s1, _ZN12_GLOBAL__N_17runRingId10FuncMinMaxIdE11ProtoSimpleILi2ELi2ELi0ELi4ELi0ELi0EELi0ELi0ELi4ELi0EEEviiP15ncclDevWorkColl@rel32@hi+12
	s_mov_b64 s[44:45], s[8:9]
	s_mov_b32 s43, s12
	s_swappc_b64 s[30:31], s[0:1]
	v_mov_b32_e32 v31, v41
	s_mov_b32 s12, s43
	s_mov_b64 s[8:9], s[44:45]
.LBB7_19:                               ;   in Loop: Header=BB7_12 Depth=1
	s_or_b32 exec_lo, exec_lo, s46
	s_cbranch_execnz .LBB7_28
; %bb.20:                               ;   in Loop: Header=BB7_12 Depth=1
	ds_load_b32 v0, v0
	s_add_i32 s48, s48, 1
	s_waitcnt lgkmcnt(0)
	v_cmp_lt_i32_e32 vcc_lo, s48, v0
	s_cbranch_vccnz .LBB7_12
.LBB7_21:
	s_clause 0x3
	scratch_load_b32 v47, off, s33
	scratch_load_b32 v46, off, s33 offset:4
	scratch_load_b32 v41, off, s33 offset:8
	;; [unrolled: 1-line block ×3, first 2 shown]
	v_readlane_b32 s30, v42, 15
	v_readlane_b32 s31, v42, 16
	;; [unrolled: 1-line block ×18, first 2 shown]
	s_or_saveexec_b32 s1, -1
	scratch_load_b32 v42, off, s33 offset:16 ; 4-byte Folded Reload
	s_mov_b32 exec_lo, s1
	s_addk_i32 s32, 0xffe0
	s_mov_b32 s33, s0
	s_waitcnt vmcnt(0)
	s_setpc_b64 s[30:31]
.LBB7_22:
	s_trap 2
	s_sendmsg_rtn_b32 s0, sendmsg(MSG_RTN_GET_DOORBELL)
	s_mov_b32 ttmp2, m0
	s_waitcnt lgkmcnt(0)
	s_and_b32 s0, s0, 0x3ff
	s_delay_alu instid0(SALU_CYCLE_1) | instskip(NEXT) | instid1(SALU_CYCLE_1)
	s_bitset1_b32 s0, 10
	s_mov_b32 m0, s0
	s_sendmsg sendmsg(MSG_INTERRUPT)
	s_mov_b32 m0, ttmp2
.LBB7_23:                               ; =>This Inner Loop Header: Depth=1
	s_sethalt 5
	s_branch .LBB7_23
.LBB7_24:
	s_trap 2
	s_sendmsg_rtn_b32 s0, sendmsg(MSG_RTN_GET_DOORBELL)
	s_mov_b32 ttmp2, m0
	s_waitcnt lgkmcnt(0)
	s_and_b32 s0, s0, 0x3ff
	s_delay_alu instid0(SALU_CYCLE_1) | instskip(NEXT) | instid1(SALU_CYCLE_1)
	s_bitset1_b32 s0, 10
	s_mov_b32 m0, s0
	s_sendmsg sendmsg(MSG_INTERRUPT)
	s_mov_b32 m0, ttmp2
.LBB7_25:                               ; =>This Inner Loop Header: Depth=1
	s_sethalt 5
	s_branch .LBB7_25
.LBB7_26:
	s_trap 2
	s_sendmsg_rtn_b32 s0, sendmsg(MSG_RTN_GET_DOORBELL)
	s_mov_b32 ttmp2, m0
	s_waitcnt lgkmcnt(0)
	s_and_b32 s0, s0, 0x3ff
	s_delay_alu instid0(SALU_CYCLE_1) | instskip(NEXT) | instid1(SALU_CYCLE_1)
	s_bitset1_b32 s0, 10
	s_mov_b32 m0, s0
	s_sendmsg sendmsg(MSG_INTERRUPT)
	s_mov_b32 m0, ttmp2
.LBB7_27:                               ; =>This Inner Loop Header: Depth=1
	s_sethalt 5
	s_branch .LBB7_27
.LBB7_28:
	s_trap 2
	s_sendmsg_rtn_b32 s0, sendmsg(MSG_RTN_GET_DOORBELL)
	s_mov_b32 ttmp2, m0
	s_waitcnt lgkmcnt(0)
	s_and_b32 s0, s0, 0x3ff
	s_delay_alu instid0(SALU_CYCLE_1) | instskip(NEXT) | instid1(SALU_CYCLE_1)
	s_bitset1_b32 s0, 10
	s_mov_b32 m0, s0
	s_sendmsg sendmsg(MSG_INTERRUPT)
	s_mov_b32 m0, ttmp2
.LBB7_29:                               ; =>This Inner Loop Header: Depth=1
	s_sethalt 5
	s_branch .LBB7_29
.LBB7_30:
	s_trap 2
	s_sendmsg_rtn_b32 s0, sendmsg(MSG_RTN_GET_DOORBELL)
	s_mov_b32 ttmp2, m0
	s_waitcnt lgkmcnt(0)
	s_and_b32 s0, s0, 0x3ff
	s_delay_alu instid0(SALU_CYCLE_1) | instskip(NEXT) | instid1(SALU_CYCLE_1)
	s_bitset1_b32 s0, 10
	s_mov_b32 m0, s0
	s_sendmsg sendmsg(MSG_INTERRUPT)
	s_mov_b32 m0, ttmp2
.LBB7_31:                               ; =>This Inner Loop Header: Depth=1
	s_sethalt 5
	s_branch .LBB7_31
.Lfunc_end7:
	.size	_Z50ncclDevFunc_AllReduce_RING_SIMPLE_MinMax_f64_0_0_4v, .Lfunc_end7-_Z50ncclDevFunc_AllReduce_RING_SIMPLE_MinMax_f64_0_0_4v
                                        ; -- End function
	.section	.AMDGPU.csdata,"",@progbits
; Function info:
; codeLenInByte = 1232
; NumSgprs: 51
; NumVgprs: 184
; ScratchSize: 144
; MemoryBound: 0
	.text
	.p2alignl 7, 3214868480
	.fill 96, 4, 3214868480
	.type	__const.__assert_fail.fmt,@object ; @__const.__assert_fail.fmt
	.section	.rodata.str1.16,"aMS",@progbits,1
	.p2align	4, 0x0
__const.__assert_fail.fmt:
	.asciz	"%s:%u: %s: Device-side assertion `%s' failed.\n"
	.size	__const.__assert_fail.fmt, 47

	.type	.str.1,@object                  ; @.str.1
	.section	.rodata.str1.1,"aMS",@progbits,1
.str.1:
	.asciz	"2*(nrecv+nsend) <= nthreads"
	.size	.str.1, 28

	.type	.str.2,@object                  ; @.str.2
.str.2:
	.asciz	"/root/src/amdgpu-assembly/repos/ROCm__rccl/hipify/src/device/prims_simple.h"
	.size	.str.2, 76

	.type	__PRETTY_FUNCTION__._ZN10PrimitivesId10FuncMinMaxIdE12FanSymmetricILi1EELi0E11ProtoSimpleILi2ELi2ELi0ELi1ELi0ELi0EELi0ELb0ELi0ELi0ELi0EEC2EiiPKiS8_PKvPvmhhhP15ncclDevWorkCollP14ncclDevWorkP2pii,@object ; @__PRETTY_FUNCTION__._ZN10PrimitivesId10FuncMinMaxIdE12FanSymmetricILi1EELi0E11ProtoSimpleILi2ELi2ELi0ELi1ELi0ELi0EELi0ELb0ELi0ELi0ELi0EEC2EiiPKiS8_PKvPvmhhhP15ncclDevWorkCollP14ncclDevWorkP2pii
__PRETTY_FUNCTION__._ZN10PrimitivesId10FuncMinMaxIdE12FanSymmetricILi1EELi0E11ProtoSimpleILi2ELi2ELi0ELi1ELi0ELi0EELi0ELb0ELi0ELi0ELi0EEC2EiiPKiS8_PKvPvmhhhP15ncclDevWorkCollP14ncclDevWorkP2pii:
	.asciz	"Primitives<double, FuncMinMax<double>, FanSymmetric<1>, 0, ProtoSimple<2, 2, 0, 1>, 0>::Primitives(int, int, const int *, const int *, const void *, void *, uint64_t, uint8_t, uint8_t, uint8_t, struct ncclDevWorkColl *, struct ncclDevWorkP2p *, int, int) [T = double, RedOp = FuncMinMax<double>, Fan = FanSymmetric<1>, Direct = 0, Proto = ProtoSimple<2, 2, 0, 1>, P2p = 0, isNetOffload = false, Metadata = 0, Pipeline = 0, useAcc = 0]"
	.size	__PRETTY_FUNCTION__._ZN10PrimitivesId10FuncMinMaxIdE12FanSymmetricILi1EELi0E11ProtoSimpleILi2ELi2ELi0ELi1ELi0ELi0EELi0ELb0ELi0ELi0ELi0EEC2EiiPKiS8_PKvPvmhhhP15ncclDevWorkCollP14ncclDevWorkP2pii, 435

	.type	__PRETTY_FUNCTION__._ZN10PrimitivesId10FuncMinMaxIdE12FanSymmetricILi1EELi0E11ProtoSimpleILi2ELi2ELi0ELi2ELi0ELi0EELi0ELb0ELi0ELi0ELi0EEC2EiiPKiS8_PKvPvmhhhP15ncclDevWorkCollP14ncclDevWorkP2pii,@object ; @__PRETTY_FUNCTION__._ZN10PrimitivesId10FuncMinMaxIdE12FanSymmetricILi1EELi0E11ProtoSimpleILi2ELi2ELi0ELi2ELi0ELi0EELi0ELb0ELi0ELi0ELi0EEC2EiiPKiS8_PKvPvmhhhP15ncclDevWorkCollP14ncclDevWorkP2pii
__PRETTY_FUNCTION__._ZN10PrimitivesId10FuncMinMaxIdE12FanSymmetricILi1EELi0E11ProtoSimpleILi2ELi2ELi0ELi2ELi0ELi0EELi0ELb0ELi0ELi0ELi0EEC2EiiPKiS8_PKvPvmhhhP15ncclDevWorkCollP14ncclDevWorkP2pii:
	.asciz	"Primitives<double, FuncMinMax<double>, FanSymmetric<1>, 0, ProtoSimple<2, 2, 0, 2>, 0>::Primitives(int, int, const int *, const int *, const void *, void *, uint64_t, uint8_t, uint8_t, uint8_t, struct ncclDevWorkColl *, struct ncclDevWorkP2p *, int, int) [T = double, RedOp = FuncMinMax<double>, Fan = FanSymmetric<1>, Direct = 0, Proto = ProtoSimple<2, 2, 0, 2>, P2p = 0, isNetOffload = false, Metadata = 0, Pipeline = 0, useAcc = 0]"
	.size	__PRETTY_FUNCTION__._ZN10PrimitivesId10FuncMinMaxIdE12FanSymmetricILi1EELi0E11ProtoSimpleILi2ELi2ELi0ELi2ELi0ELi0EELi0ELb0ELi0ELi0ELi0EEC2EiiPKiS8_PKvPvmhhhP15ncclDevWorkCollP14ncclDevWorkP2pii, 435

	.type	__PRETTY_FUNCTION__._ZN10PrimitivesId10FuncMinMaxIdE12FanSymmetricILi1EELi0E11ProtoSimpleILi2ELi2ELi0ELi4ELi0ELi0EELi0ELb0ELi0ELi0ELi0EEC2EiiPKiS8_PKvPvmhhhP15ncclDevWorkCollP14ncclDevWorkP2pii,@object ; @__PRETTY_FUNCTION__._ZN10PrimitivesId10FuncMinMaxIdE12FanSymmetricILi1EELi0E11ProtoSimpleILi2ELi2ELi0ELi4ELi0ELi0EELi0ELb0ELi0ELi0ELi0EEC2EiiPKiS8_PKvPvmhhhP15ncclDevWorkCollP14ncclDevWorkP2pii
__PRETTY_FUNCTION__._ZN10PrimitivesId10FuncMinMaxIdE12FanSymmetricILi1EELi0E11ProtoSimpleILi2ELi2ELi0ELi4ELi0ELi0EELi0ELb0ELi0ELi0ELi0EEC2EiiPKiS8_PKvPvmhhhP15ncclDevWorkCollP14ncclDevWorkP2pii:
	.asciz	"Primitives<double, FuncMinMax<double>, FanSymmetric<1>, 0, ProtoSimple<2, 2, 0, 4>, 0>::Primitives(int, int, const int *, const int *, const void *, void *, uint64_t, uint8_t, uint8_t, uint8_t, struct ncclDevWorkColl *, struct ncclDevWorkP2p *, int, int) [T = double, RedOp = FuncMinMax<double>, Fan = FanSymmetric<1>, Direct = 0, Proto = ProtoSimple<2, 2, 0, 4>, P2p = 0, isNetOffload = false, Metadata = 0, Pipeline = 0, useAcc = 0]"
	.size	__PRETTY_FUNCTION__._ZN10PrimitivesId10FuncMinMaxIdE12FanSymmetricILi1EELi0E11ProtoSimpleILi2ELi2ELi0ELi4ELi0ELi0EELi0ELb0ELi0ELi0ELi0EEC2EiiPKiS8_PKvPvmhhhP15ncclDevWorkCollP14ncclDevWorkP2pii, 435

	.type	__hip_cuid_f741779e025d5ef7,@object ; @__hip_cuid_f741779e025d5ef7
	.section	.bss,"aw",@nobits
	.globl	__hip_cuid_f741779e025d5ef7
__hip_cuid_f741779e025d5ef7:
	.byte	0                               ; 0x0
	.size	__hip_cuid_f741779e025d5ef7, 1

	.ident	"AMD clang version 19.0.0git (https://github.com/RadeonOpenCompute/llvm-project roc-6.4.0 25133 c7fe45cf4b819c5991fe208aaa96edf142730f1d)"
	.section	".note.GNU-stack","",@progbits
	.addrsig
	.addrsig_sym _Z50ncclDevFunc_AllReduce_RING_SIMPLE_MinMax_f64_0_0_1v
	.addrsig_sym _Z50ncclDevFunc_AllReduce_RING_SIMPLE_MinMax_f64_0_0_2v
	.addrsig_sym _Z50ncclDevFunc_AllReduce_RING_SIMPLE_MinMax_f64_0_0_4v
	.addrsig_sym ncclShmem
	.addrsig_sym __hip_cuid_f741779e025d5ef7
	.amdgpu_metadata
---
amdhsa.kernels:  []
amdhsa.target:   amdgcn-amd-amdhsa--gfx1100
amdhsa.version:
  - 1
  - 2
...

	.end_amdgpu_metadata
